;; amdgpu-corpus repo=ROCm/rocFFT kind=compiled arch=gfx906 opt=O3
	.text
	.amdgcn_target "amdgcn-amd-amdhsa--gfx906"
	.amdhsa_code_object_version 6
	.protected	bluestein_single_fwd_len1989_dim1_dp_op_CI_CI ; -- Begin function bluestein_single_fwd_len1989_dim1_dp_op_CI_CI
	.globl	bluestein_single_fwd_len1989_dim1_dp_op_CI_CI
	.p2align	8
	.type	bluestein_single_fwd_len1989_dim1_dp_op_CI_CI,@function
bluestein_single_fwd_len1989_dim1_dp_op_CI_CI: ; @bluestein_single_fwd_len1989_dim1_dp_op_CI_CI
; %bb.0:
	s_mov_b64 s[66:67], s[2:3]
	s_mov_b64 s[64:65], s[0:1]
	v_mul_u32_u24_e32 v1, 0x1ad, v0
	s_add_u32 s64, s64, s7
	v_add_u32_sdwa v3, s6, v1 dst_sel:DWORD dst_unused:UNUSED_PAD src0_sel:DWORD src1_sel:WORD_1
	s_addc_u32 s65, s65, 0
	v_mov_b32_e32 v2, v3
	buffer_store_dword v2, off, s[64:67], 0 ; 4-byte Folded Spill
	s_nop 0
	buffer_store_dword v3, off, s[64:67], 0 offset:4 ; 4-byte Folded Spill
	s_load_dwordx4 s[0:3], s[4:5], 0x28
	v_mov_b32_e32 v4, 0
	s_waitcnt lgkmcnt(0)
	v_cmp_gt_u64_e32 vcc, s[0:1], v[3:4]
	s_and_saveexec_b64 s[0:1], vcc
	s_cbranch_execz .LBB0_23
; %bb.1:
	s_load_dwordx2 s[12:13], s[4:5], 0x0
	s_load_dwordx2 s[14:15], s[4:5], 0x38
	s_movk_i32 s0, 0x99
	v_mul_lo_u16_sdwa v1, v1, s0 dst_sel:DWORD dst_unused:UNUSED_PAD src0_sel:WORD_1 src1_sel:DWORD
	v_sub_u16_e32 v184, v0, v1
	s_movk_i32 s0, 0x75
	v_cmp_gt_u16_e64 s[0:1], s0, v184
	v_lshlrev_b32_e32 v255, 4, v184
	s_and_saveexec_b64 s[6:7], s[0:1]
	s_cbranch_execz .LBB0_3
; %bb.2:
	s_load_dwordx2 s[8:9], s[4:5], 0x18
	s_waitcnt lgkmcnt(0)
	s_load_dwordx4 s[8:11], s[8:9], 0x0
	buffer_load_dword v0, off, s[64:67], 0  ; 4-byte Folded Reload
	buffer_load_dword v1, off, s[64:67], 0 offset:4 ; 4-byte Folded Reload
	s_waitcnt lgkmcnt(0)
	v_mad_u64_u32 v[2:3], s[16:17], s8, v184, 0
	s_waitcnt vmcnt(1)
	v_mov_b32_e32 v4, v0
	s_waitcnt vmcnt(0)
	v_mad_u64_u32 v[0:1], s[16:17], s10, v4, 0
	v_mad_u64_u32 v[4:5], s[10:11], s11, v4, v[1:2]
	;; [unrolled: 1-line block ×3, first 2 shown]
	v_mov_b32_e32 v1, v4
	v_lshlrev_b64 v[0:1], 4, v[0:1]
	v_mov_b32_e32 v3, v5
	v_mov_b32_e32 v6, s3
	v_lshlrev_b64 v[2:3], 4, v[2:3]
	v_add_co_u32_e32 v0, vcc, s2, v0
	v_addc_co_u32_e32 v1, vcc, v6, v1, vcc
	v_add_co_u32_e32 v8, vcc, v0, v2
	v_addc_co_u32_e32 v9, vcc, v1, v3, vcc
	v_mov_b32_e32 v0, s13
	v_add_co_u32_e32 v24, vcc, s12, v255
	s_mul_i32 s2, s9, 0x750
	s_mul_hi_u32 s3, s8, 0x750
	v_addc_co_u32_e32 v25, vcc, 0, v0, vcc
	s_add_i32 s2, s3, s2
	s_mul_i32 s3, s8, 0x750
	v_mov_b32_e32 v0, s2
	v_add_co_u32_e32 v10, vcc, s3, v8
	v_addc_co_u32_e32 v11, vcc, v9, v0, vcc
	global_load_dwordx4 v[0:3], v[8:9], off
	global_load_dwordx4 v[4:7], v[10:11], off
	v_mov_b32_e32 v8, s2
	v_add_co_u32_e32 v26, vcc, s3, v10
	v_addc_co_u32_e32 v27, vcc, v11, v8, vcc
	v_mov_b32_e32 v16, s2
	v_add_co_u32_e32 v28, vcc, s3, v26
	v_addc_co_u32_e32 v29, vcc, v27, v16, vcc
	s_movk_i32 s8, 0x1000
	v_add_co_u32_e32 v38, vcc, s8, v24
	v_addc_co_u32_e32 v39, vcc, 0, v25, vcc
	global_load_dwordx4 v[8:11], v255, s[12:13] offset:1872
	global_load_dwordx4 v[12:15], v255, s[12:13] offset:3744
	global_load_dwordx4 v[16:19], v[26:27], off
	global_load_dwordx4 v[20:23], v[28:29], off
	v_mov_b32_e32 v26, s2
	v_add_co_u32_e32 v40, vcc, s3, v28
	v_addc_co_u32_e32 v41, vcc, v29, v26, vcc
	global_load_dwordx4 v[26:29], v[40:41], off
	global_load_dwordx4 v[30:33], v[38:39], off offset:1520
	global_load_dwordx4 v[34:37], v[38:39], off offset:3392
	v_mov_b32_e32 v38, s2
	v_add_co_u32_e32 v58, vcc, s3, v40
	v_addc_co_u32_e32 v59, vcc, v41, v38, vcc
	s_movk_i32 s8, 0x2000
	v_add_co_u32_e32 v60, vcc, s8, v24
	v_addc_co_u32_e32 v61, vcc, 0, v25, vcc
	s_movk_i32 s8, 0x7000
	v_add_co_u32_e32 v62, vcc, s8, v24
	v_addc_co_u32_e32 v63, vcc, 0, v25, vcc
	global_load_dwordx4 v[38:41], v[58:59], off
	global_load_dwordx4 v[42:45], v[60:61], off offset:1168
	global_load_dwordx4 v[46:49], v[60:61], off offset:3040
	global_load_dwordx4 v[50:53], v255, s[12:13]
	global_load_dwordx4 v[54:57], v[62:63], off offset:1280
	v_mov_b32_e32 v60, s2
	v_add_co_u32_e32 v62, vcc, s3, v58
	v_addc_co_u32_e32 v63, vcc, v59, v60, vcc
	v_mov_b32_e32 v64, s2
	v_add_co_u32_e32 v66, vcc, s3, v62
	v_addc_co_u32_e32 v67, vcc, v63, v64, vcc
	s_movk_i32 s8, 0x3000
	v_add_co_u32_e32 v78, vcc, s8, v24
	v_addc_co_u32_e32 v79, vcc, 0, v25, vcc
	v_mov_b32_e32 v68, s2
	v_add_co_u32_e32 v80, vcc, s3, v66
	v_addc_co_u32_e32 v81, vcc, v67, v68, vcc
	global_load_dwordx4 v[58:61], v[62:63], off
	v_add_co_u32_e32 v82, vcc, s3, v80
	global_load_dwordx4 v[62:65], v[66:67], off
	s_nop 0
	global_load_dwordx4 v[66:69], v[80:81], off
	global_load_dwordx4 v[70:73], v[78:79], off offset:816
	global_load_dwordx4 v[74:77], v[78:79], off offset:2688
	v_mov_b32_e32 v78, s2
	v_addc_co_u32_e32 v83, vcc, v81, v78, vcc
	s_movk_i32 s8, 0x4000
	v_add_co_u32_e32 v94, vcc, s8, v24
	v_addc_co_u32_e32 v95, vcc, 0, v25, vcc
	v_mov_b32_e32 v84, s2
	v_add_co_u32_e32 v96, vcc, s3, v82
	v_addc_co_u32_e32 v97, vcc, v83, v84, vcc
	global_load_dwordx4 v[78:81], v[82:83], off
	s_nop 0
	global_load_dwordx4 v[82:85], v[96:97], off
	global_load_dwordx4 v[86:89], v[94:95], off offset:464
	global_load_dwordx4 v[90:93], v[94:95], off offset:2336
	v_mov_b32_e32 v94, s2
	v_add_co_u32_e32 v98, vcc, s3, v96
	v_addc_co_u32_e32 v99, vcc, v97, v94, vcc
	s_movk_i32 s8, 0x5000
	v_add_co_u32_e32 v118, vcc, s8, v24
	v_addc_co_u32_e32 v119, vcc, 0, v25, vcc
	v_mov_b32_e32 v100, s2
	v_add_co_u32_e32 v110, vcc, s3, v98
	v_addc_co_u32_e32 v111, vcc, v99, v100, vcc
	v_mov_b32_e32 v112, s2
	v_add_co_u32_e32 v120, vcc, s3, v110
	v_addc_co_u32_e32 v121, vcc, v111, v112, vcc
	global_load_dwordx4 v[94:97], v[98:99], off
	s_nop 0
	global_load_dwordx4 v[98:101], v[110:111], off
	global_load_dwordx4 v[102:105], v[118:119], off offset:112
	global_load_dwordx4 v[106:109], v[118:119], off offset:1984
	s_nop 0
	global_load_dwordx4 v[110:113], v[120:121], off
	global_load_dwordx4 v[114:117], v[118:119], off offset:3856
	v_mov_b32_e32 v118, s2
	v_add_co_u32_e32 v122, vcc, s3, v120
	v_addc_co_u32_e32 v123, vcc, v121, v118, vcc
	s_movk_i32 s8, 0x6000
	v_add_co_u32_e32 v24, vcc, s8, v24
	v_addc_co_u32_e32 v25, vcc, 0, v25, vcc
	v_mov_b32_e32 v124, s2
	v_add_co_u32_e32 v134, vcc, s3, v122
	v_addc_co_u32_e32 v135, vcc, v123, v124, vcc
	global_load_dwordx4 v[118:121], v[122:123], off
	s_nop 0
	global_load_dwordx4 v[122:125], v[134:135], off
	global_load_dwordx4 v[126:129], v[24:25], off offset:1632
	global_load_dwordx4 v[130:133], v[24:25], off offset:3504
	v_mov_b32_e32 v25, s2
	v_add_co_u32_e32 v24, vcc, s3, v134
	v_addc_co_u32_e32 v25, vcc, v135, v25, vcc
	global_load_dwordx4 v[134:137], v[24:25], off
	s_waitcnt vmcnt(21)
	v_mul_f64 v[24:25], v[2:3], v[52:53]
	v_mul_f64 v[138:139], v[6:7], v[10:11]
	;; [unrolled: 1-line block ×12, first 2 shown]
	v_fma_f64 v[0:1], v[0:1], v[50:51], v[24:25]
	v_fma_f64 v[4:5], v[4:5], v[8:9], v[138:139]
	v_fma_f64 v[6:7], v[6:7], v[8:9], -v[10:11]
	v_fma_f64 v[8:9], v[16:17], v[12:13], v[140:141]
	v_fma_f64 v[16:17], v[26:27], v[34:35], v[144:145]
	s_waitcnt vmcnt(19)
	v_mul_f64 v[24:25], v[60:61], v[48:49]
	v_mul_f64 v[26:27], v[58:59], v[48:49]
	v_fma_f64 v[2:3], v[2:3], v[50:51], -v[52:53]
	v_fma_f64 v[10:11], v[18:19], v[12:13], -v[14:15]
	v_fma_f64 v[12:13], v[20:21], v[30:31], v[142:143]
	v_fma_f64 v[14:15], v[22:23], v[30:31], -v[32:33]
	v_fma_f64 v[18:19], v[28:29], v[34:35], -v[36:37]
	s_waitcnt vmcnt(16)
	v_mul_f64 v[28:29], v[64:65], v[72:73]
	v_mul_f64 v[30:31], v[62:63], v[72:73]
	s_waitcnt vmcnt(15)
	v_mul_f64 v[32:33], v[68:69], v[76:77]
	v_mul_f64 v[34:35], v[66:67], v[76:77]
	v_fma_f64 v[20:21], v[38:39], v[42:43], v[146:147]
	v_fma_f64 v[22:23], v[40:41], v[42:43], -v[44:45]
	v_fma_f64 v[24:25], v[58:59], v[46:47], v[24:25]
	v_fma_f64 v[26:27], v[60:61], v[46:47], -v[26:27]
	ds_write_b128 v255, v[0:3]
	v_fma_f64 v[0:1], v[62:63], v[70:71], v[28:29]
	v_fma_f64 v[2:3], v[64:65], v[70:71], -v[30:31]
	v_fma_f64 v[28:29], v[66:67], v[74:75], v[32:33]
	v_fma_f64 v[30:31], v[68:69], v[74:75], -v[34:35]
	ds_write_b128 v255, v[4:7] offset:1872
	ds_write_b128 v255, v[8:11] offset:3744
	;; [unrolled: 1-line block ×8, first 2 shown]
	s_waitcnt vmcnt(12)
	v_mul_f64 v[0:1], v[80:81], v[88:89]
	v_mul_f64 v[2:3], v[78:79], v[88:89]
	s_waitcnt vmcnt(11)
	v_mul_f64 v[4:5], v[84:85], v[92:93]
	v_mul_f64 v[6:7], v[82:83], v[92:93]
	v_fma_f64 v[0:1], v[78:79], v[86:87], v[0:1]
	v_fma_f64 v[2:3], v[80:81], v[86:87], -v[2:3]
	v_fma_f64 v[4:5], v[82:83], v[90:91], v[4:5]
	v_fma_f64 v[6:7], v[84:85], v[90:91], -v[6:7]
	s_waitcnt vmcnt(8)
	v_mul_f64 v[8:9], v[96:97], v[104:105]
	v_mul_f64 v[10:11], v[94:95], v[104:105]
	s_waitcnt vmcnt(7)
	v_mul_f64 v[12:13], v[100:101], v[108:109]
	v_mul_f64 v[14:15], v[98:99], v[108:109]
	;; [unrolled: 3-line block ×3, first 2 shown]
	v_fma_f64 v[8:9], v[94:95], v[102:103], v[8:9]
	v_fma_f64 v[10:11], v[96:97], v[102:103], -v[10:11]
	v_fma_f64 v[12:13], v[98:99], v[106:107], v[12:13]
	v_fma_f64 v[14:15], v[100:101], v[106:107], -v[14:15]
	v_fma_f64 v[16:17], v[110:111], v[114:115], v[16:17]
	v_fma_f64 v[18:19], v[112:113], v[114:115], -v[18:19]
	s_waitcnt vmcnt(2)
	v_mul_f64 v[20:21], v[120:121], v[128:129]
	v_mul_f64 v[22:23], v[118:119], v[128:129]
	s_waitcnt vmcnt(1)
	v_mul_f64 v[24:25], v[124:125], v[132:133]
	v_mul_f64 v[26:27], v[122:123], v[132:133]
	;; [unrolled: 3-line block ×3, first 2 shown]
	v_fma_f64 v[20:21], v[118:119], v[126:127], v[20:21]
	v_fma_f64 v[22:23], v[120:121], v[126:127], -v[22:23]
	v_fma_f64 v[24:25], v[122:123], v[130:131], v[24:25]
	v_fma_f64 v[26:27], v[124:125], v[130:131], -v[26:27]
	;; [unrolled: 2-line block ×3, first 2 shown]
	ds_write_b128 v255, v[0:3] offset:16848
	ds_write_b128 v255, v[4:7] offset:18720
	;; [unrolled: 1-line block ×8, first 2 shown]
.LBB0_3:
	s_or_b64 exec, exec, s[6:7]
	s_load_dwordx2 s[2:3], s[4:5], 0x20
	s_load_dwordx2 s[8:9], s[4:5], 0x8
	s_waitcnt vmcnt(0) lgkmcnt(0)
	s_barrier
	s_waitcnt lgkmcnt(0)
                                        ; implicit-def: $vgpr0_vgpr1
                                        ; implicit-def: $vgpr60_vgpr61
                                        ; implicit-def: $vgpr64_vgpr65
                                        ; implicit-def: $vgpr56_vgpr57
                                        ; implicit-def: $vgpr52_vgpr53
                                        ; implicit-def: $vgpr48_vgpr49
                                        ; implicit-def: $vgpr4_vgpr5
                                        ; implicit-def: $vgpr8_vgpr9
                                        ; implicit-def: $vgpr12_vgpr13
                                        ; implicit-def: $vgpr16_vgpr17
                                        ; implicit-def: $vgpr20_vgpr21
                                        ; implicit-def: $vgpr24_vgpr25
                                        ; implicit-def: $vgpr28_vgpr29
                                        ; implicit-def: $vgpr32_vgpr33
                                        ; implicit-def: $vgpr36_vgpr37
                                        ; implicit-def: $vgpr40_vgpr41
                                        ; implicit-def: $vgpr44_vgpr45
	s_and_saveexec_b64 s[4:5], s[0:1]
	s_cbranch_execz .LBB0_5
; %bb.4:
	ds_read_b128 v[0:3], v255
	ds_read_b128 v[60:63], v255 offset:1872
	ds_read_b128 v[64:67], v255 offset:3744
	ds_read_b128 v[56:59], v255 offset:5616
	ds_read_b128 v[52:55], v255 offset:7488
	ds_read_b128 v[48:51], v255 offset:9360
	ds_read_b128 v[4:7], v255 offset:11232
	ds_read_b128 v[8:11], v255 offset:13104
	ds_read_b128 v[12:15], v255 offset:14976
	ds_read_b128 v[16:19], v255 offset:16848
	ds_read_b128 v[20:23], v255 offset:18720
	ds_read_b128 v[24:27], v255 offset:20592
	ds_read_b128 v[28:31], v255 offset:22464
	ds_read_b128 v[32:35], v255 offset:24336
	ds_read_b128 v[36:39], v255 offset:26208
	ds_read_b128 v[40:43], v255 offset:28080
	ds_read_b128 v[44:47], v255 offset:29952
.LBB0_5:
	s_or_b64 exec, exec, s[4:5]
	s_waitcnt lgkmcnt(0)
	v_add_f64 v[134:135], v[62:63], -v[46:47]
	v_add_f64 v[108:109], v[60:61], -v[44:45]
	s_mov_b32 s22, 0x2a9d6da3
	s_mov_b32 s23, 0xbfe58eea
	;; [unrolled: 1-line block ×4, first 2 shown]
	v_add_f64 v[94:95], v[60:61], v[44:45]
	v_add_f64 v[152:153], v[66:67], -v[42:43]
	v_mul_f64 v[76:77], v[134:135], s[22:23]
	v_mul_f64 v[80:81], v[108:109], s[22:23]
	;; [unrolled: 1-line block ×3, first 2 shown]
	s_mov_b32 s4, 0x370991
	s_mov_b32 s5, 0x3fedd6d0
	v_add_f64 v[104:105], v[64:65], v[40:41]
	v_add_f64 v[168:169], v[58:59], -v[38:39]
	v_mul_f64 v[174:175], v[152:153], s[22:23]
	buffer_store_dword v76, off, s[64:67], 0 offset:12 ; 4-byte Folded Spill
	s_nop 0
	buffer_store_dword v77, off, s[64:67], 0 offset:16 ; 4-byte Folded Spill
	buffer_store_dword v80, off, s[64:67], 0 offset:204 ; 4-byte Folded Spill
	s_nop 0
	buffer_store_dword v81, off, s[64:67], 0 offset:208 ; 4-byte Folded Spill
	v_fma_f64 v[68:69], v[94:95], s[4:5], v[166:167]
	s_mov_b32 s6, 0x75d4884
	s_mov_b32 s26, 0x7c9e640b
	;; [unrolled: 1-line block ×4, first 2 shown]
	v_fma_f64 v[72:73], v[104:105], s[6:7], v[174:175]
	v_add_f64 v[110:111], v[56:57], v[36:37]
	v_mul_f64 v[185:186], v[168:169], s[26:27]
	v_add_f64 v[68:69], v[0:1], v[68:69]
	v_add_f64 v[176:177], v[54:55], -v[34:35]
	s_mov_b32 s10, 0x2b2883cd
	s_mov_b32 s30, 0xeb564b22
	;; [unrolled: 1-line block ×4, first 2 shown]
	v_add_f64 v[136:137], v[52:53], v[32:33]
	v_fma_f64 v[74:75], v[110:111], s[10:11], v[185:186]
	v_add_f64 v[68:69], v[72:73], v[68:69]
	v_mul_f64 v[196:197], v[176:177], s[30:31]
	v_add_f64 v[194:195], v[50:51], -v[30:31]
	s_mov_b32 s16, 0x3259b75e
	s_mov_b32 s40, 0x923c349f
	;; [unrolled: 1-line block ×6, first 2 shown]
	v_add_f64 v[68:69], v[74:75], v[68:69]
	v_fma_f64 v[74:75], v[136:137], s[16:17], v[196:197]
	v_add_f64 v[148:149], v[48:49], v[28:29]
	v_mul_f64 v[202:203], v[194:195], s[38:39]
	v_add_f64 v[224:225], v[6:7], -v[26:27]
	s_mov_b32 s24, 0xc61f0d01
	s_mov_b32 s42, 0x6c9a05f6
	;; [unrolled: 1-line block ×4, first 2 shown]
	v_add_f64 v[68:69], v[74:75], v[68:69]
	v_add_f64 v[158:159], v[4:5], v[24:25]
	v_fma_f64 v[74:75], v[148:149], s[24:25], v[202:203]
	v_mul_f64 v[206:207], v[224:225], s[42:43]
	v_add_f64 v[239:240], v[10:11], -v[22:23]
	s_mov_b32 s20, 0x6ed5f1bb
	s_mov_b32 s44, 0x4363dd80
	s_mov_b32 s21, 0xbfe348c8
	s_mov_b32 s45, 0x3fe0d888
	s_mov_b32 s47, 0xbfe0d888
	s_mov_b32 s46, s44
	v_add_f64 v[68:69], v[74:75], v[68:69]
	v_fma_f64 v[74:75], v[158:159], s[20:21], v[206:207]
	v_add_f64 v[170:171], v[8:9], v[20:21]
	v_mul_f64 v[210:211], v[239:240], s[46:47]
	s_mov_b32 s28, 0x910ea3b9
	s_mov_b32 s29, 0xbfeb34fa
	v_add_f64 v[96:97], v[62:63], v[46:47]
	v_add_f64 v[150:151], v[64:65], -v[40:41]
	v_add_f64 v[164:165], v[56:57], -v[36:37]
	v_add_f64 v[68:69], v[74:75], v[68:69]
	v_mul_f64 v[78:79], v[152:153], s[30:31]
	v_fma_f64 v[74:75], v[170:171], s[28:29], v[210:211]
	buffer_store_dword v78, off, s[64:67], 0 offset:28 ; 4-byte Folded Spill
	s_nop 0
	buffer_store_dword v79, off, s[64:67], 0 offset:32 ; 4-byte Folded Spill
	v_add_f64 v[68:69], v[74:75], v[68:69]
	v_mul_f64 v[82:83], v[168:169], s[42:43]
	v_mul_f64 v[84:85], v[164:165], s[42:43]
	v_add_f64 v[130:131], v[66:67], v[42:43]
	v_add_f64 v[142:143], v[58:59], v[38:39]
	s_mov_b32 s48, 0xacd6c6b4
	s_mov_b32 s49, 0xbfc7851a
	v_add_f64 v[86:87], v[14:15], -v[18:19]
	v_add_f64 v[188:189], v[12:13], v[16:17]
	s_mov_b32 s36, 0x7faef3
	s_mov_b32 s37, 0xbfef7484
	v_add_f64 v[182:183], v[52:53], -v[32:33]
	v_add_f64 v[204:205], v[48:49], -v[28:29]
	v_fma_f64 v[74:75], v[94:95], s[6:7], v[76:77]
	v_fma_f64 v[76:77], v[96:97], s[6:7], -v[80:81]
	v_mul_f64 v[80:81], v[150:151], s[30:31]
	v_mul_f64 v[216:217], v[86:87], s[48:49]
	v_add_f64 v[140:141], v[54:55], v[34:35]
	v_add_f64 v[160:161], v[50:51], v[30:31]
	v_mul_f64 v[88:89], v[182:183], s[48:49]
	v_add_f64 v[220:221], v[4:5], -v[24:25]
	buffer_store_dword v80, off, s[64:67], 0 offset:172 ; 4-byte Folded Spill
	s_nop 0
	buffer_store_dword v81, off, s[64:67], 0 offset:176 ; 4-byte Folded Spill
	buffer_store_dword v82, off, s[64:67], 0 offset:44 ; 4-byte Folded Spill
	s_nop 0
	buffer_store_dword v83, off, s[64:67], 0 offset:48 ; 4-byte Folded Spill
	;; [unrolled: 3-line block ×3, first 2 shown]
	v_add_f64 v[76:77], v[2:3], v[76:77]
	v_add_f64 v[74:75], v[0:1], v[74:75]
	v_mul_f64 v[172:173], v[108:109], s[18:19]
	v_mul_f64 v[192:193], v[150:151], s[22:23]
	;; [unrolled: 1-line block ×5, first 2 shown]
	v_add_f64 v[180:181], v[6:7], v[26:27]
	v_mul_f64 v[212:213], v[220:221], s[42:43]
	v_add_f64 v[237:238], v[8:9], -v[20:21]
	v_fma_f64 v[70:71], v[96:97], s[4:5], -v[172:173]
	v_fma_f64 v[72:73], v[130:131], s[6:7], -v[192:193]
	v_add_f64 v[178:179], v[10:11], v[22:23]
	v_add_f64 v[243:244], v[12:13], -v[16:17]
	v_add_f64 v[190:191], v[14:15], v[18:19]
	s_mov_b32 s55, 0x3feca52d
	s_mov_b32 s54, s26
	v_mul_f64 v[214:215], v[237:238], s[46:47]
	v_add_f64 v[70:71], v[2:3], v[70:71]
	v_mul_f64 v[90:91], v[237:238], s[54:55]
	s_mov_b32 s57, 0x3fd71e95
	v_mul_f64 v[218:219], v[243:244], s[48:49]
	s_mov_b32 s56, s18
	v_mul_f64 v[92:93], v[243:244], s[56:57]
	v_mul_f64 v[98:99], v[239:240], s[30:31]
	;; [unrolled: 1-line block ×3, first 2 shown]
	v_add_f64 v[70:71], v[72:73], v[70:71]
	v_fma_f64 v[72:73], v[142:143], s[10:11], -v[198:199]
	v_mul_f64 v[245:246], v[108:109], s[26:27]
	v_mul_f64 v[232:233], v[152:153], s[42:43]
	;; [unrolled: 1-line block ×3, first 2 shown]
	s_mov_b32 s53, 0x3fc7851a
	s_mov_b32 s52, s48
	v_mul_f64 v[234:235], v[168:169], s[52:53]
	v_mul_f64 v[253:254], v[164:165], s[52:53]
	v_add_f64 v[70:71], v[72:73], v[70:71]
	v_fma_f64 v[72:73], v[140:141], s[16:17], -v[200:201]
	v_mul_f64 v[241:242], v[176:177], s[40:41]
	v_mul_f64 v[249:250], v[182:183], s[40:41]
	s_mov_b32 s51, 0x3fe58eea
	s_mov_b32 s50, s22
	v_mul_f64 v[222:223], v[194:195], s[50:51]
	v_mul_f64 v[251:252], v[220:221], s[18:19]
	;; [unrolled: 1-line block ×3, first 2 shown]
	v_add_f64 v[70:71], v[72:73], v[70:71]
	v_fma_f64 v[72:73], v[160:161], s[24:25], -v[208:209]
	v_mul_f64 v[228:229], v[243:244], s[46:47]
	v_mul_f64 v[138:139], v[108:109], s[30:31]
	;; [unrolled: 1-line block ×6, first 2 shown]
	v_fma_f64 v[78:79], v[104:105], s[16:17], v[78:79]
	v_add_f64 v[70:71], v[72:73], v[70:71]
	v_fma_f64 v[72:73], v[180:181], s[20:21], -v[212:213]
	v_mul_f64 v[146:147], v[182:183], s[56:57]
	v_mul_f64 v[132:133], v[194:195], s[26:27]
	;; [unrolled: 1-line block ×5, first 2 shown]
	v_add_f64 v[74:75], v[78:79], v[74:75]
	s_mov_b32 s59, 0x3fe9895b
	v_add_f64 v[70:71], v[72:73], v[70:71]
	v_fma_f64 v[72:73], v[178:179], s[28:29], -v[214:215]
	s_mov_b32 s58, s42
	v_mul_f64 v[100:101], v[239:240], s[58:59]
	v_add_f64 v[70:71], v[72:73], v[70:71]
	v_fma_f64 v[72:73], v[190:191], s[36:37], -v[218:219]
	v_fma_f64 v[80:81], v[130:131], s[16:17], -v[80:81]
	v_fma_f64 v[78:79], v[110:111], s[20:21], v[82:83]
	v_fma_f64 v[82:83], v[188:189], s[36:37], v[216:217]
	v_add_f64 v[114:115], v[72:73], v[70:71]
	v_fma_f64 v[72:73], v[94:95], s[10:11], v[230:231]
	v_add_f64 v[76:77], v[80:81], v[76:77]
	v_fma_f64 v[80:81], v[142:143], s[20:21], -v[84:85]
	v_mul_f64 v[84:85], v[176:177], s[48:49]
	v_add_f64 v[74:75], v[78:79], v[74:75]
	v_add_f64 v[112:113], v[82:83], v[68:69]
	v_mul_f64 v[82:83], v[194:195], s[44:45]
	buffer_store_dword v84, off, s[64:67], 0 offset:60 ; 4-byte Folded Spill
	s_nop 0
	buffer_store_dword v85, off, s[64:67], 0 offset:64 ; 4-byte Folded Spill
	buffer_store_dword v88, off, s[64:67], 0 offset:140 ; 4-byte Folded Spill
	s_nop 0
	buffer_store_dword v89, off, s[64:67], 0 offset:144 ; 4-byte Folded Spill
	buffer_store_dword v82, off, s[64:67], 0 offset:76 ; 4-byte Folded Spill
	s_nop 0
	buffer_store_dword v83, off, s[64:67], 0 offset:80 ; 4-byte Folded Spill
	v_add_f64 v[76:77], v[80:81], v[76:77]
	v_add_f64 v[72:73], v[0:1], v[72:73]
	v_fma_f64 v[78:79], v[136:137], s[36:37], v[84:85]
	v_mul_f64 v[84:85], v[204:205], s[44:45]
	v_fma_f64 v[80:81], v[140:141], s[36:37], -v[88:89]
	v_mul_f64 v[88:89], v[220:221], s[40:41]
	buffer_store_dword v84, off, s[64:67], 0 offset:220 ; 4-byte Folded Spill
	s_nop 0
	buffer_store_dword v85, off, s[64:67], 0 offset:224 ; 4-byte Folded Spill
	v_add_f64 v[68:69], v[78:79], v[74:75]
	v_add_f64 v[70:71], v[80:81], v[76:77]
	v_fma_f64 v[76:77], v[148:149], s[28:29], v[82:83]
	v_fma_f64 v[74:75], v[96:97], s[10:11], -v[245:246]
	v_fma_f64 v[80:81], v[104:105], s[20:21], v[232:233]
	v_fma_f64 v[82:83], v[130:131], s[20:21], -v[247:248]
	v_add_f64 v[68:69], v[76:77], v[68:69]
	v_add_f64 v[74:75], v[2:3], v[74:75]
	;; [unrolled: 1-line block ×3, first 2 shown]
	v_fma_f64 v[80:81], v[110:111], s[36:37], v[234:235]
	v_add_f64 v[74:75], v[82:83], v[74:75]
	v_fma_f64 v[82:83], v[142:143], s[36:37], -v[253:254]
	v_add_f64 v[72:73], v[80:81], v[72:73]
	v_fma_f64 v[80:81], v[136:137], s[24:25], v[241:242]
	v_add_f64 v[74:75], v[82:83], v[74:75]
	v_fma_f64 v[82:83], v[140:141], s[24:25], -v[249:250]
	v_add_f64 v[72:73], v[80:81], v[72:73]
	v_fma_f64 v[80:81], v[148:149], s[6:7], v[222:223]
	v_add_f64 v[74:75], v[82:83], v[74:75]
	v_add_f64 v[72:73], v[80:81], v[72:73]
	v_fma_f64 v[78:79], v[160:161], s[28:29], -v[84:85]
	v_mul_f64 v[84:85], v[224:225], s[40:41]
	buffer_store_dword v84, off, s[64:67], 0 offset:92 ; 4-byte Folded Spill
	s_nop 0
	buffer_store_dword v85, off, s[64:67], 0 offset:96 ; 4-byte Folded Spill
	buffer_store_dword v88, off, s[64:67], 0 offset:188 ; 4-byte Folded Spill
	s_nop 0
	buffer_store_dword v89, off, s[64:67], 0 offset:192 ; 4-byte Folded Spill
	v_add_f64 v[70:71], v[78:79], v[70:71]
	v_fma_f64 v[76:77], v[158:159], s[24:25], v[84:85]
	v_fma_f64 v[78:79], v[180:181], s[24:25], -v[88:89]
	v_mul_f64 v[88:89], v[239:240], s[54:55]
	buffer_store_dword v88, off, s[64:67], 0 offset:108 ; 4-byte Folded Spill
	s_nop 0
	buffer_store_dword v89, off, s[64:67], 0 offset:112 ; 4-byte Folded Spill
	buffer_store_dword v90, off, s[64:67], 0 offset:228 ; 4-byte Folded Spill
	s_nop 0
	buffer_store_dword v91, off, s[64:67], 0 offset:232 ; 4-byte Folded Spill
	v_add_f64 v[68:69], v[76:77], v[68:69]
	v_add_f64 v[70:71], v[78:79], v[70:71]
	v_mul_f64 v[84:85], v[204:205], s[50:51]
	v_fma_f64 v[82:83], v[160:161], s[6:7], -v[84:85]
	v_add_f64 v[74:75], v[82:83], v[74:75]
	v_fma_f64 v[82:83], v[180:181], s[4:5], -v[251:252]
	v_add_f64 v[74:75], v[82:83], v[74:75]
	v_fma_f64 v[76:77], v[170:171], s[10:11], v[88:89]
	v_mul_f64 v[88:89], v[224:225], s[18:19]
	v_fma_f64 v[78:79], v[178:179], s[10:11], -v[90:91]
	v_mul_f64 v[90:91], v[86:87], s[56:57]
	buffer_store_dword v88, off, s[64:67], 0 offset:244 ; 4-byte Folded Spill
	s_nop 0
	buffer_store_dword v89, off, s[64:67], 0 offset:248 ; 4-byte Folded Spill
	buffer_store_dword v90, off, s[64:67], 0 offset:124 ; 4-byte Folded Spill
	s_nop 0
	buffer_store_dword v91, off, s[64:67], 0 offset:128 ; 4-byte Folded Spill
	;; [unrolled: 3-line block ×4, first 2 shown]
	v_add_f64 v[68:69], v[76:77], v[68:69]
	v_add_f64 v[70:71], v[78:79], v[70:71]
	s_waitcnt vmcnt(0)
	s_barrier
	v_fma_f64 v[80:81], v[158:159], s[4:5], v[88:89]
	v_mul_f64 v[88:89], v[237:238], s[30:31]
	v_fma_f64 v[76:77], v[188:189], s[4:5], v[90:91]
	v_fma_f64 v[78:79], v[190:191], s[4:5], -v[92:93]
	v_mul_f64 v[92:93], v[134:135], s[30:31]
	v_mul_f64 v[90:91], v[86:87], s[50:51]
	v_add_f64 v[72:73], v[80:81], v[72:73]
	v_fma_f64 v[80:81], v[170:171], s[16:17], v[98:99]
	v_fma_f64 v[82:83], v[178:179], s[16:17], -v[88:89]
	v_add_f64 v[116:117], v[76:77], v[68:69]
	v_add_f64 v[118:119], v[78:79], v[70:71]
	v_fma_f64 v[76:77], v[94:95], s[16:17], v[92:93]
	v_mul_f64 v[98:99], v[152:153], s[48:49]
	v_add_f64 v[68:69], v[80:81], v[72:73]
	v_add_f64 v[70:71], v[82:83], v[74:75]
	v_fma_f64 v[72:73], v[188:189], s[28:29], v[226:227]
	v_fma_f64 v[74:75], v[190:191], s[28:29], -v[228:229]
	v_add_f64 v[120:121], v[72:73], v[68:69]
	v_add_f64 v[122:123], v[74:75], v[70:71]
	;; [unrolled: 1-line block ×3, first 2 shown]
	v_fma_f64 v[70:71], v[104:105], s[36:37], v[98:99]
	v_fma_f64 v[72:73], v[130:131], s[36:37], -v[144:145]
	v_add_f64 v[68:69], v[70:71], v[68:69]
	v_fma_f64 v[70:71], v[96:97], s[16:17], -v[138:139]
	v_add_f64 v[70:71], v[2:3], v[70:71]
	v_add_f64 v[70:71], v[72:73], v[70:71]
	v_fma_f64 v[72:73], v[110:111], s[24:25], v[128:129]
	v_add_f64 v[68:69], v[72:73], v[68:69]
	v_fma_f64 v[72:73], v[142:143], s[24:25], -v[154:155]
	v_add_f64 v[70:71], v[72:73], v[70:71]
	v_fma_f64 v[72:73], v[136:137], s[4:5], v[106:107]
	v_add_f64 v[68:69], v[72:73], v[68:69]
	v_fma_f64 v[72:73], v[140:141], s[4:5], -v[146:147]
	;; [unrolled: 4-line block ×4, first 2 shown]
	v_add_f64 v[70:71], v[72:73], v[70:71]
	v_fma_f64 v[72:73], v[170:171], s[20:21], v[100:101]
	v_add_f64 v[72:73], v[72:73], v[68:69]
	v_mul_f64 v[68:69], v[237:238], s[58:59]
	v_fma_f64 v[74:75], v[178:179], s[20:21], -v[68:69]
	v_add_f64 v[74:75], v[74:75], v[70:71]
	v_fma_f64 v[70:71], v[188:189], s[6:7], v[90:91]
	v_add_f64 v[124:125], v[70:71], v[72:73]
	v_mul_f64 v[70:71], v[243:244], s[50:51]
	v_fma_f64 v[72:73], v[190:191], s[6:7], -v[70:71]
	v_add_f64 v[126:127], v[72:73], v[74:75]
	s_mov_b64 s[34:35], exec
	s_and_b64 s[60:61], s[34:35], s[0:1]
	buffer_store_dword v184, off, s[64:67], 0 offset:8 ; 4-byte Folded Spill
	s_mov_b64 exec, s[60:61]
	s_cbranch_execz .LBB0_7
; %bb.6:
	v_mul_f64 v[72:73], v[96:97], s[36:37]
	v_mul_f64 v[76:77], v[130:131], s[4:5]
	;; [unrolled: 1-line block ×3, first 2 shown]
	buffer_store_dword v166, off, s[64:67], 0 offset:308 ; 4-byte Folded Spill
	s_nop 0
	buffer_store_dword v167, off, s[64:67], 0 offset:312 ; 4-byte Folded Spill
	buffer_store_dword v172, off, s[64:67], 0 offset:332 ; 4-byte Folded Spill
	s_nop 0
	buffer_store_dword v173, off, s[64:67], 0 offset:336 ; 4-byte Folded Spill
	;; [unrolled: 3-line block ×5, first 2 shown]
	v_fma_f64 v[74:75], v[108:109], s[52:53], v[72:73]
	v_fma_f64 v[78:79], v[150:151], s[18:19], v[76:77]
	;; [unrolled: 1-line block ×4, first 2 shown]
	buffer_store_dword v196, off, s[64:67], 0 offset:292 ; 4-byte Folded Spill
	s_nop 0
	buffer_store_dword v197, off, s[64:67], 0 offset:296 ; 4-byte Folded Spill
	v_fma_f64 v[76:77], v[150:151], s[56:57], v[76:77]
	buffer_store_dword v198, off, s[64:67], 0 offset:348 ; 4-byte Folded Spill
	s_nop 0
	buffer_store_dword v199, off, s[64:67], 0 offset:352 ; 4-byte Folded Spill
	buffer_store_dword v200, off, s[64:67], 0 offset:324 ; 4-byte Folded Spill
	s_nop 0
	buffer_store_dword v201, off, s[64:67], 0 offset:328 ; 4-byte Folded Spill
	v_add_f64 v[74:75], v[2:3], v[74:75]
	buffer_store_dword v202, off, s[64:67], 0 offset:300 ; 4-byte Folded Spill
	s_nop 0
	buffer_store_dword v203, off, s[64:67], 0 offset:304 ; 4-byte Folded Spill
	buffer_store_dword v206, off, s[64:67], 0 offset:276 ; 4-byte Folded Spill
	s_nop 0
	buffer_store_dword v207, off, s[64:67], 0 offset:280 ; 4-byte Folded Spill
	v_add_f64 v[72:73], v[2:3], v[72:73]
	buffer_store_dword v208, off, s[64:67], 0 offset:340 ; 4-byte Folded Spill
	s_nop 0
	buffer_store_dword v209, off, s[64:67], 0 offset:344 ; 4-byte Folded Spill
	s_mov_b32 s61, 0x3fefdd0d
	s_mov_b32 s60, s30
	buffer_store_dword v228, off, s[64:67], 0 offset:388 ; 4-byte Folded Spill
	s_nop 0
	buffer_store_dword v229, off, s[64:67], 0 offset:392 ; 4-byte Folded Spill
	v_add_f64 v[74:75], v[78:79], v[74:75]
	v_mul_f64 v[78:79], v[134:135], s[48:49]
	buffer_store_dword v226, off, s[64:67], 0 offset:380 ; 4-byte Folded Spill
	s_nop 0
	buffer_store_dword v227, off, s[64:67], 0 offset:384 ; 4-byte Folded Spill
	v_add_f64 v[72:73], v[76:77], v[72:73]
	v_add_f64 v[60:61], v[0:1], v[60:61]
	;; [unrolled: 1-line block ×3, first 2 shown]
	v_fma_f64 v[80:81], v[94:95], s[36:37], v[78:79]
	v_fma_f64 v[76:77], v[94:95], s[36:37], -v[78:79]
	v_fma_f64 v[78:79], v[104:105], s[4:5], -v[82:83]
	v_mul_f64 v[82:83], v[130:131], s[10:11]
	v_add_f64 v[64:65], v[60:61], v[64:65]
	v_add_f64 v[66:67], v[62:63], v[66:67]
	;; [unrolled: 1-line block ×7, first 2 shown]
	v_mul_f64 v[166:167], v[142:143], s[28:29]
	v_add_f64 v[76:77], v[78:79], v[76:77]
	v_add_f64 v[64:65], v[64:65], v[52:53]
	;; [unrolled: 1-line block ×3, first 2 shown]
	v_fma_f64 v[172:173], v[164:165], s[44:45], v[166:167]
	v_fma_f64 v[78:79], v[164:165], s[46:47], v[166:167]
	v_mul_f64 v[166:167], v[142:143], s[16:17]
	v_add_f64 v[64:65], v[64:65], v[48:49]
	v_add_f64 v[50:51], v[66:67], v[50:51]
	;; [unrolled: 1-line block ×3, first 2 shown]
	v_mul_f64 v[172:173], v[168:169], s[46:47]
	v_add_f64 v[72:73], v[78:79], v[72:73]
	v_add_f64 v[4:5], v[64:65], v[4:5]
	v_add_f64 v[6:7], v[50:51], v[6:7]
	v_fma_f64 v[174:175], v[110:111], s[28:29], v[172:173]
	v_fma_f64 v[78:79], v[110:111], s[28:29], -v[172:173]
	v_mul_f64 v[172:173], v[140:141], s[20:21]
	v_add_f64 v[4:5], v[4:5], v[8:9]
	v_add_f64 v[6:7], v[6:7], v[10:11]
	v_add_f64 v[80:81], v[174:175], v[80:81]
	v_mul_f64 v[174:175], v[140:141], s[6:7]
	v_add_f64 v[76:77], v[78:79], v[76:77]
	v_add_f64 v[4:5], v[4:5], v[12:13]
	;; [unrolled: 1-line block ×3, first 2 shown]
	v_fma_f64 v[184:185], v[182:183], s[22:23], v[174:175]
	v_fma_f64 v[78:79], v[182:183], s[50:51], v[174:175]
	v_mul_f64 v[174:175], v[160:161], s[4:5]
	v_add_f64 v[4:5], v[4:5], v[16:17]
	v_add_f64 v[6:7], v[6:7], v[18:19]
	;; [unrolled: 1-line block ×3, first 2 shown]
	v_mul_f64 v[184:185], v[176:177], s[50:51]
	v_add_f64 v[72:73], v[78:79], v[72:73]
	v_add_f64 v[4:5], v[4:5], v[20:21]
	;; [unrolled: 1-line block ×3, first 2 shown]
	v_fma_f64 v[186:187], v[136:137], s[6:7], v[184:185]
	v_fma_f64 v[78:79], v[136:137], s[6:7], -v[184:185]
	v_mul_f64 v[184:185], v[180:181], s[36:37]
	v_add_f64 v[6:7], v[6:7], v[26:27]
	v_add_f64 v[4:5], v[4:5], v[24:25]
	;; [unrolled: 1-line block ×3, first 2 shown]
	v_mul_f64 v[186:187], v[160:161], s[20:21]
	v_add_f64 v[76:77], v[78:79], v[76:77]
	v_add_f64 v[6:7], v[6:7], v[30:31]
	;; [unrolled: 1-line block ×3, first 2 shown]
	v_fma_f64 v[192:193], v[204:205], s[58:59], v[186:187]
	v_fma_f64 v[78:79], v[204:205], s[42:43], v[186:187]
	v_mul_f64 v[186:187], v[178:179], s[6:7]
	v_add_f64 v[6:7], v[6:7], v[34:35]
	v_add_f64 v[4:5], v[4:5], v[32:33]
	;; [unrolled: 1-line block ×3, first 2 shown]
	v_mul_f64 v[192:193], v[194:195], s[42:43]
	v_add_f64 v[72:73], v[78:79], v[72:73]
	v_add_f64 v[6:7], v[6:7], v[38:39]
	;; [unrolled: 1-line block ×3, first 2 shown]
	v_fma_f64 v[196:197], v[148:149], s[20:21], v[192:193]
	v_add_f64 v[26:27], v[6:7], v[42:43]
	v_add_f64 v[4:5], v[4:5], v[40:41]
	;; [unrolled: 1-line block ×3, first 2 shown]
	v_mul_f64 v[196:197], v[180:181], s[10:11]
	v_fma_f64 v[198:199], v[220:221], s[26:27], v[196:197]
	v_fma_f64 v[78:79], v[220:221], s[54:55], v[196:197]
	v_mul_f64 v[196:197], v[152:153], s[54:55]
	v_add_f64 v[74:75], v[198:199], v[74:75]
	v_mul_f64 v[198:199], v[224:225], s[54:55]
	v_add_f64 v[72:73], v[78:79], v[72:73]
	v_fma_f64 v[200:201], v[158:159], s[10:11], v[198:199]
	v_add_f64 v[80:81], v[200:201], v[80:81]
	v_mul_f64 v[200:201], v[178:179], s[24:25]
	v_fma_f64 v[202:203], v[237:238], s[40:41], v[200:201]
	v_fma_f64 v[78:79], v[237:238], s[38:39], v[200:201]
	v_add_f64 v[74:75], v[202:203], v[74:75]
	v_mul_f64 v[202:203], v[239:240], s[38:39]
	v_add_f64 v[72:73], v[78:79], v[72:73]
	v_fma_f64 v[78:79], v[148:149], s[20:21], -v[192:193]
	v_mul_f64 v[192:193], v[134:135], s[46:47]
	v_fma_f64 v[206:207], v[170:171], s[24:25], v[202:203]
	v_add_f64 v[76:77], v[78:79], v[76:77]
	v_fma_f64 v[78:79], v[158:159], s[10:11], -v[198:199]
	v_fma_f64 v[198:199], v[104:105], s[10:11], v[196:197]
	v_add_f64 v[80:81], v[206:207], v[80:81]
	v_mul_f64 v[206:207], v[190:191], s[16:17]
	v_add_f64 v[76:77], v[78:79], v[76:77]
	v_fma_f64 v[78:79], v[170:171], s[24:25], -v[202:203]
	v_fma_f64 v[208:209], v[243:244], s[30:31], v[206:207]
	v_add_f64 v[76:77], v[78:79], v[76:77]
	v_fma_f64 v[78:79], v[243:244], s[60:61], v[206:207]
	v_add_f64 v[228:229], v[208:209], v[74:75]
	v_mul_f64 v[74:75], v[86:87], s[60:61]
	v_fma_f64 v[208:209], v[188:189], s[16:17], v[74:75]
	v_add_f64 v[226:227], v[208:209], v[80:81]
	v_fma_f64 v[80:81], v[188:189], s[16:17], -v[74:75]
	v_add_f64 v[74:75], v[78:79], v[72:73]
	v_fma_f64 v[78:79], v[150:151], s[26:27], v[82:83]
	buffer_store_dword v226, off, s[64:67], 0 offset:260 ; 4-byte Folded Spill
	s_nop 0
	buffer_store_dword v227, off, s[64:67], 0 offset:264 ; 4-byte Folded Spill
	buffer_store_dword v228, off, s[64:67], 0 offset:268 ; 4-byte Folded Spill
	;; [unrolled: 1-line block ×3, first 2 shown]
	v_add_f64 v[72:73], v[80:81], v[76:77]
	v_mul_f64 v[80:81], v[96:97], s[28:29]
	buffer_store_dword v72, off, s[64:67], 0 offset:364 ; 4-byte Folded Spill
	s_nop 0
	buffer_store_dword v73, off, s[64:67], 0 offset:368 ; 4-byte Folded Spill
	buffer_store_dword v74, off, s[64:67], 0 offset:372 ; 4-byte Folded Spill
	;; [unrolled: 1-line block ×3, first 2 shown]
	v_fma_f64 v[76:77], v[108:109], s[44:45], v[80:81]
	v_mul_f64 v[74:75], v[190:191], s[24:25]
	buffer_store_dword v210, off, s[64:67], 0 offset:396 ; 4-byte Folded Spill
	s_nop 0
	buffer_store_dword v211, off, s[64:67], 0 offset:400 ; 4-byte Folded Spill
	v_mul_f64 v[210:211], v[86:87], s[38:39]
	v_add_f64 v[76:77], v[2:3], v[76:77]
	v_add_f64 v[76:77], v[78:79], v[76:77]
	v_fma_f64 v[78:79], v[164:165], s[60:61], v[166:167]
	v_add_f64 v[76:77], v[78:79], v[76:77]
	v_fma_f64 v[78:79], v[182:183], s[42:43], v[172:173]
	;; [unrolled: 2-line block ×6, first 2 shown]
	v_add_f64 v[78:79], v[0:1], v[78:79]
	v_add_f64 v[78:79], v[198:199], v[78:79]
	v_mul_f64 v[198:199], v[168:169], s[30:31]
	v_fma_f64 v[200:201], v[110:111], s[16:17], v[198:199]
	v_add_f64 v[78:79], v[200:201], v[78:79]
	v_mul_f64 v[200:201], v[176:177], s[58:59]
	v_fma_f64 v[202:203], v[136:137], s[20:21], v[200:201]
	;; [unrolled: 3-line block ×5, first 2 shown]
	v_add_f64 v[72:73], v[72:73], v[78:79]
	v_fma_f64 v[78:79], v[243:244], s[40:41], v[74:75]
	v_fma_f64 v[74:75], v[243:244], s[38:39], v[74:75]
	v_add_f64 v[228:229], v[78:79], v[76:77]
	v_fma_f64 v[76:77], v[188:189], s[24:25], v[210:211]
	v_mov_b32_e32 v78, v218
	v_mov_b32_e32 v79, v219
	v_mov_b32_e32 v219, v215
	v_mov_b32_e32 v218, v214
	v_mul_f64 v[214:215], v[86:87], s[54:55]
	v_mul_f64 v[86:87], v[86:87], s[42:43]
	v_add_f64 v[226:227], v[76:77], v[72:73]
	v_fma_f64 v[72:73], v[108:109], s[46:47], v[80:81]
	v_fma_f64 v[80:81], v[150:151], s[54:55], v[82:83]
	v_fma_f64 v[82:83], v[104:105], s[10:11], -v[196:197]
	v_mul_f64 v[196:197], v[152:153], s[40:41]
	v_mov_b32_e32 v76, v216
	v_mov_b32_e32 v77, v217
	;; [unrolled: 1-line block ×4, first 2 shown]
	v_add_f64 v[72:73], v[2:3], v[72:73]
	v_mul_f64 v[212:213], v[190:191], s[10:11]
	v_mul_f64 v[152:153], v[152:153], s[44:45]
	v_add_f64 v[72:73], v[80:81], v[72:73]
	v_fma_f64 v[80:81], v[164:165], s[30:31], v[166:167]
	v_fma_f64 v[166:167], v[188:189], s[24:25], -v[210:211]
	v_add_f64 v[72:73], v[80:81], v[72:73]
	v_fma_f64 v[80:81], v[182:183], s[58:59], v[172:173]
	v_mul_f64 v[172:173], v[140:141], s[28:29]
	v_add_f64 v[72:73], v[80:81], v[72:73]
	v_fma_f64 v[80:81], v[204:205], s[18:19], v[174:175]
	v_mul_f64 v[174:175], v[160:161], s[16:17]
	;; [unrolled: 3-line block ×4, first 2 shown]
	v_add_f64 v[72:73], v[80:81], v[72:73]
	v_fma_f64 v[80:81], v[94:95], s[28:29], -v[192:193]
	v_mul_f64 v[192:193], v[134:135], s[42:43]
	v_mul_f64 v[134:135], v[134:135], s[38:39]
	v_add_f64 v[80:81], v[0:1], v[80:81]
	v_add_f64 v[80:81], v[82:83], v[80:81]
	v_fma_f64 v[82:83], v[110:111], s[16:17], -v[198:199]
	v_fma_f64 v[198:199], v[104:105], s[24:25], v[196:197]
	v_add_f64 v[80:81], v[82:83], v[80:81]
	v_fma_f64 v[82:83], v[136:137], s[20:21], -v[200:201]
	v_add_f64 v[80:81], v[82:83], v[80:81]
	v_fma_f64 v[82:83], v[148:149], s[4:5], -v[202:203]
	;; [unrolled: 2-line block ×4, first 2 shown]
	v_add_f64 v[80:81], v[82:83], v[80:81]
	v_add_f64 v[82:83], v[74:75], v[72:73]
	v_mul_f64 v[72:73], v[96:97], s[20:21]
	v_mul_f64 v[74:75], v[130:131], s[24:25]
	v_add_f64 v[80:81], v[166:167], v[80:81]
	v_mul_f64 v[166:167], v[142:143], s[4:5]
	v_fma_f64 v[60:61], v[108:109], s[58:59], v[72:73]
	v_fma_f64 v[62:63], v[150:151], s[38:39], v[74:75]
	;; [unrolled: 1-line block ×4, first 2 shown]
	v_fma_f64 v[72:73], v[104:105], s[24:25], -v[196:197]
	v_fma_f64 v[74:75], v[188:189], s[10:11], -v[214:215]
	v_add_f64 v[60:61], v[2:3], v[60:61]
	v_add_f64 v[56:57], v[2:3], v[56:57]
	;; [unrolled: 1-line block ×3, first 2 shown]
	v_fma_f64 v[62:63], v[164:165], s[56:57], v[166:167]
	v_add_f64 v[56:57], v[58:59], v[56:57]
	v_fma_f64 v[58:59], v[164:165], s[18:19], v[166:167]
	v_mul_f64 v[166:167], v[142:143], s[6:7]
	v_add_f64 v[60:61], v[62:63], v[60:61]
	v_fma_f64 v[62:63], v[182:183], s[44:45], v[172:173]
	v_add_f64 v[56:57], v[58:59], v[56:57]
	v_fma_f64 v[58:59], v[182:183], s[46:47], v[172:173]
	v_mul_f64 v[172:173], v[140:141], s[10:11]
	v_fma_f64 v[66:67], v[164:165], s[50:51], v[166:167]
	v_add_f64 v[60:61], v[62:63], v[60:61]
	v_fma_f64 v[62:63], v[204:205], s[30:31], v[174:175]
	v_add_f64 v[56:57], v[58:59], v[56:57]
	v_fma_f64 v[58:59], v[204:205], s[60:61], v[174:175]
	v_mul_f64 v[174:175], v[160:161], s[36:37]
	v_add_f64 v[60:61], v[62:63], v[60:61]
	v_fma_f64 v[62:63], v[220:221], s[50:51], v[184:185]
	v_add_f64 v[56:57], v[58:59], v[56:57]
	v_fma_f64 v[58:59], v[220:221], s[22:23], v[184:185]
	v_mul_f64 v[184:185], v[180:181], s[16:17]
	;; [unrolled: 5-line block ×3, first 2 shown]
	v_add_f64 v[60:61], v[62:63], v[60:61]
	v_fma_f64 v[62:63], v[94:95], s[20:21], v[192:193]
	v_add_f64 v[56:57], v[58:59], v[56:57]
	v_fma_f64 v[58:59], v[94:95], s[20:21], -v[192:193]
	v_fma_f64 v[192:193], v[104:105], s[28:29], v[152:153]
	v_add_f64 v[62:63], v[0:1], v[62:63]
	v_add_f64 v[58:59], v[0:1], v[58:59]
	;; [unrolled: 1-line block ×3, first 2 shown]
	v_mul_f64 v[198:199], v[168:169], s[18:19]
	v_add_f64 v[58:59], v[72:73], v[58:59]
	v_mul_f64 v[168:169], v[168:169], s[50:51]
	v_fma_f64 v[200:201], v[110:111], s[4:5], v[198:199]
	v_fma_f64 v[72:73], v[110:111], s[4:5], -v[198:199]
	v_add_f64 v[62:63], v[200:201], v[62:63]
	v_mul_f64 v[200:201], v[176:177], s[46:47]
	v_add_f64 v[58:59], v[72:73], v[58:59]
	v_mul_f64 v[176:177], v[176:177], s[26:27]
	v_fma_f64 v[202:203], v[136:137], s[28:29], v[200:201]
	v_fma_f64 v[72:73], v[136:137], s[28:29], -v[200:201]
	v_mul_f64 v[200:201], v[190:191], s[20:21]
	v_add_f64 v[62:63], v[202:203], v[62:63]
	v_mul_f64 v[202:203], v[194:195], s[60:61]
	v_add_f64 v[58:59], v[72:73], v[58:59]
	v_fma_f64 v[206:207], v[148:149], s[16:17], v[202:203]
	v_fma_f64 v[72:73], v[148:149], s[16:17], -v[202:203]
	v_add_f64 v[62:63], v[206:207], v[62:63]
	v_mul_f64 v[206:207], v[224:225], s[22:23]
	v_add_f64 v[58:59], v[72:73], v[58:59]
	v_fma_f64 v[208:209], v[158:159], s[6:7], v[206:207]
	v_fma_f64 v[72:73], v[158:159], s[6:7], -v[206:207]
	v_add_f64 v[62:63], v[208:209], v[62:63]
	v_mul_f64 v[208:209], v[239:240], s[48:49]
	v_add_f64 v[58:59], v[72:73], v[58:59]
	v_fma_f64 v[72:73], v[170:171], s[36:37], -v[208:209]
	v_fma_f64 v[210:211], v[170:171], s[36:37], v[208:209]
	v_add_f64 v[72:73], v[72:73], v[58:59]
	v_fma_f64 v[58:59], v[243:244], s[54:55], v[212:213]
	v_add_f64 v[210:211], v[210:211], v[62:63]
	;; [unrolled: 2-line block ×3, first 2 shown]
	v_add_f64 v[56:57], v[74:75], v[72:73]
	v_mul_f64 v[72:73], v[96:97], s[24:25]
	v_mul_f64 v[74:75], v[130:131], s[28:29]
	v_add_f64 v[62:63], v[62:63], v[60:61]
	v_fma_f64 v[60:61], v[188:189], s[10:11], v[214:215]
	v_fma_f64 v[52:53], v[108:109], s[40:41], v[72:73]
	;; [unrolled: 1-line block ×5, first 2 shown]
	v_fma_f64 v[74:75], v[104:105], s[28:29], -v[152:153]
	v_mul_f64 v[108:109], v[96:97], s[16:17]
	v_mul_f64 v[152:153], v[148:149], s[24:25]
	v_add_f64 v[60:61], v[60:61], v[210:211]
	v_add_f64 v[52:53], v[2:3], v[52:53]
	;; [unrolled: 1-line block ×4, first 2 shown]
	v_mul_f64 v[138:139], v[110:111], s[10:11]
	v_add_f64 v[52:53], v[54:55], v[52:53]
	v_fma_f64 v[54:55], v[164:165], s[22:23], v[166:167]
	v_add_f64 v[48:49], v[72:73], v[48:49]
	v_fma_f64 v[72:73], v[182:183], s[26:27], v[172:173]
	v_mul_f64 v[164:165], v[180:181], s[24:25]
	v_add_f64 v[108:109], v[2:3], v[108:109]
	v_add_f64 v[52:53], v[54:55], v[52:53]
	v_fma_f64 v[54:55], v[182:183], s[54:55], v[172:173]
	v_add_f64 v[48:49], v[66:67], v[48:49]
	v_fma_f64 v[66:67], v[204:205], s[48:49], v[174:175]
	v_mul_f64 v[172:173], v[188:189], s[36:37]
	v_add_f64 v[52:53], v[54:55], v[52:53]
	v_fma_f64 v[54:55], v[204:205], s[52:53], v[174:175]
	v_add_f64 v[48:49], v[72:73], v[48:49]
	v_fma_f64 v[72:73], v[220:221], s[60:61], v[184:185]
	v_add_f64 v[24:25], v[172:173], -v[76:77]
	v_add_f64 v[52:53], v[54:55], v[52:53]
	v_fma_f64 v[54:55], v[220:221], s[30:31], v[184:185]
	v_add_f64 v[48:49], v[66:67], v[48:49]
	v_fma_f64 v[66:67], v[237:238], s[18:19], v[186:187]
	buffer_load_dword v184, off, s[64:67], 0 offset:8 ; 4-byte Folded Reload
	buffer_load_dword v150, off, s[64:67], 0 offset:204 ; 4-byte Folded Reload
	;; [unrolled: 1-line block ×3, first 2 shown]
	v_add_f64 v[52:53], v[54:55], v[52:53]
	v_fma_f64 v[54:55], v[237:238], s[56:57], v[186:187]
	v_add_f64 v[48:49], v[72:73], v[48:49]
	v_fma_f64 v[72:73], v[243:244], s[42:43], v[200:201]
	;; [unrolled: 2-line block ×3, first 2 shown]
	v_add_f64 v[48:49], v[66:67], v[48:49]
	v_fma_f64 v[66:67], v[94:95], s[24:25], -v[134:135]
	v_mul_f64 v[134:135], v[130:131], s[36:37]
	v_add_f64 v[54:55], v[0:1], v[54:55]
	v_add_f64 v[48:49], v[72:73], v[48:49]
	;; [unrolled: 1-line block ×4, first 2 shown]
	v_mul_f64 v[144:145], v[110:111], s[20:21]
	v_add_f64 v[54:55], v[192:193], v[54:55]
	v_fma_f64 v[192:193], v[110:111], s[6:7], v[168:169]
	v_add_f64 v[66:67], v[74:75], v[66:67]
	v_fma_f64 v[74:75], v[110:111], s[6:7], -v[168:169]
	v_add_f64 v[108:109], v[134:135], v[108:109]
	v_mul_f64 v[134:135], v[140:141], s[4:5]
	v_mul_f64 v[168:169], v[178:179], s[10:11]
	v_add_f64 v[54:55], v[192:193], v[54:55]
	v_fma_f64 v[192:193], v[136:137], s[10:11], v[176:177]
	v_add_f64 v[66:67], v[74:75], v[66:67]
	v_fma_f64 v[74:75], v[136:137], s[10:11], -v[176:177]
	v_add_f64 v[134:135], v[146:147], v[134:135]
	v_mul_f64 v[176:177], v[188:189], s[28:29]
	v_mul_f64 v[146:147], v[136:137], s[16:17]
	v_add_f64 v[54:55], v[192:193], v[54:55]
	v_mul_f64 v[192:193], v[194:195], s[48:49]
	v_add_f64 v[66:67], v[74:75], v[66:67]
	v_fma_f64 v[194:195], v[148:149], s[36:37], v[192:193]
	v_fma_f64 v[74:75], v[148:149], s[36:37], -v[192:193]
	v_add_f64 v[54:55], v[194:195], v[54:55]
	v_mul_f64 v[194:195], v[224:225], s[60:61]
	v_add_f64 v[66:67], v[74:75], v[66:67]
	v_fma_f64 v[196:197], v[158:159], s[16:17], v[194:195]
	v_fma_f64 v[74:75], v[158:159], s[16:17], -v[194:195]
	v_add_f64 v[54:55], v[196:197], v[54:55]
	v_mul_f64 v[196:197], v[239:240], s[18:19]
	v_add_f64 v[66:67], v[74:75], v[66:67]
	v_fma_f64 v[74:75], v[170:171], s[4:5], -v[196:197]
	v_fma_f64 v[198:199], v[170:171], s[4:5], v[196:197]
	v_add_f64 v[74:75], v[74:75], v[66:67]
	v_mul_f64 v[66:67], v[142:143], s[24:25]
	v_add_f64 v[198:199], v[198:199], v[54:55]
	v_fma_f64 v[54:55], v[243:244], s[58:59], v[200:201]
	v_add_f64 v[66:67], v[154:155], v[66:67]
	v_mul_f64 v[154:155], v[160:161], s[24:25]
	v_add_f64 v[54:55], v[54:55], v[52:53]
	v_fma_f64 v[52:53], v[188:189], s[20:21], v[86:87]
	v_fma_f64 v[86:87], v[188:189], s[20:21], -v[86:87]
	v_add_f64 v[66:67], v[66:67], v[108:109]
	v_mul_f64 v[108:109], v[160:161], s[10:11]
	v_add_f64 v[52:53], v[52:53], v[198:199]
	v_add_f64 v[66:67], v[134:135], v[66:67]
	;; [unrolled: 1-line block ×3, first 2 shown]
	v_mul_f64 v[134:135], v[180:181], s[28:29]
	buffer_load_dword v156, off, s[64:67], 0 offset:172 ; 4-byte Folded Reload
	buffer_load_dword v157, off, s[64:67], 0 offset:176 ; 4-byte Folded Reload
	v_add_f64 v[66:67], v[108:109], v[66:67]
	v_mul_f64 v[108:109], v[178:179], s[20:21]
	v_add_f64 v[134:135], v[162:163], v[134:135]
	buffer_load_dword v162, off, s[64:67], 0 offset:156 ; 4-byte Folded Reload
	buffer_load_dword v163, off, s[64:67], 0 offset:160 ; 4-byte Folded Reload
	;; [unrolled: 1-line block ×12, first 2 shown]
	v_add_f64 v[68:69], v[68:69], v[108:109]
	v_mul_f64 v[108:109], v[190:191], s[6:7]
	v_add_f64 v[66:67], v[134:135], v[66:67]
	v_mul_f64 v[134:135], v[160:161], s[6:7]
	v_mul_f64 v[160:161], v[160:161], s[28:29]
	v_add_f64 v[70:71], v[70:71], v[108:109]
	v_mul_f64 v[108:109], v[94:95], s[16:17]
	v_add_f64 v[66:67], v[68:69], v[66:67]
	;; [unrolled: 2-line block ×3, first 2 shown]
	v_mul_f64 v[134:135], v[130:131], s[6:7]
	v_mul_f64 v[110:111], v[110:111], s[36:37]
	v_add_f64 v[92:93], v[108:109], -v[92:93]
	v_mul_f64 v[108:109], v[104:105], s[36:37]
	v_add_f64 v[68:69], v[68:69], -v[128:129]
	v_mul_f64 v[128:129], v[142:143], s[36:37]
	v_add_f64 v[66:67], v[70:71], v[66:67]
	v_add_f64 v[110:111], v[110:111], -v[234:235]
	v_add_f64 v[92:93], v[0:1], v[92:93]
	v_add_f64 v[98:99], v[108:109], -v[98:99]
	v_mul_f64 v[108:109], v[130:131], s[20:21]
	v_add_f64 v[128:129], v[253:254], v[128:129]
	v_mul_f64 v[130:131], v[130:131], s[16:17]
	v_add_f64 v[92:93], v[98:99], v[92:93]
	;; [unrolled: 2-line block ×3, first 2 shown]
	v_add_f64 v[68:69], v[68:69], v[92:93]
	v_add_f64 v[98:99], v[98:99], -v[106:107]
	v_mul_f64 v[106:107], v[96:97], s[10:11]
	v_mul_f64 v[92:93], v[148:149], s[10:11]
	v_add_f64 v[68:69], v[98:99], v[68:69]
	v_mul_f64 v[98:99], v[158:159], s[28:29]
	v_add_f64 v[106:107], v[245:246], v[106:107]
	v_add_f64 v[92:93], v[92:93], -v[132:133]
	v_mul_f64 v[132:133], v[96:97], s[4:5]
	v_mul_f64 v[96:97], v[96:97], s[6:7]
	v_add_f64 v[98:99], v[98:99], -v[102:103]
	v_mul_f64 v[102:103], v[170:171], s[20:21]
	v_add_f64 v[106:107], v[2:3], v[106:107]
	v_add_f64 v[68:69], v[92:93], v[68:69]
	v_mul_f64 v[92:93], v[94:95], s[4:5]
	s_waitcnt vmcnt(14)
	v_add_f64 v[96:97], v[150:151], v[96:97]
	s_waitcnt vmcnt(12)
	v_add_f64 v[130:131], v[156:157], v[130:131]
	v_mul_f64 v[150:151], v[140:141], s[16:17]
	v_mul_f64 v[156:157], v[148:149], s[28:29]
	v_add_f64 v[100:101], v[102:103], -v[100:101]
	v_mul_f64 v[102:103], v[140:141], s[24:25]
	v_add_f64 v[106:107], v[108:109], v[106:107]
	v_add_f64 v[68:69], v[98:99], v[68:69]
	v_mul_f64 v[108:109], v[188:189], s[6:7]
	v_mul_f64 v[98:99], v[94:95], s[6:7]
	;; [unrolled: 1-line block ×3, first 2 shown]
	v_add_f64 v[96:97], v[2:3], v[96:97]
	v_mul_f64 v[140:141], v[140:141], s[36:37]
	v_add_f64 v[102:103], v[249:250], v[102:103]
	v_add_f64 v[106:107], v[128:129], v[106:107]
	;; [unrolled: 1-line block ×3, first 2 shown]
	v_mul_f64 v[100:101], v[180:181], s[4:5]
	v_mul_f64 v[128:129], v[178:179], s[16:17]
	v_add_f64 v[90:91], v[108:109], -v[90:91]
	v_mul_f64 v[108:109], v[104:105], s[6:7]
	v_add_f64 v[94:95], v[94:95], -v[230:231]
	v_add_f64 v[96:97], v[130:131], v[96:97]
	v_add_f64 v[102:103], v[102:103], v[106:107]
	v_mul_f64 v[106:107], v[136:137], s[24:25]
	v_add_f64 v[100:101], v[251:252], v[100:101]
	v_add_f64 v[88:89], v[88:89], v[128:129]
	v_mul_f64 v[128:129], v[104:105], s[16:17]
	v_mul_f64 v[104:105], v[104:105], s[20:21]
	v_add_f64 v[94:95], v[0:1], v[94:95]
	v_mul_f64 v[148:149], v[148:149], s[6:7]
	v_add_f64 v[84:85], v[84:85], v[102:103]
	v_mul_f64 v[102:103], v[142:143], s[10:11]
	v_mul_f64 v[142:143], v[142:143], s[20:21]
	v_add_f64 v[106:107], v[106:107], -v[241:242]
	s_waitcnt vmcnt(8)
	v_add_f64 v[140:141], v[166:167], v[140:141]
	v_add_f64 v[104:105], v[104:105], -v[232:233]
	v_mul_f64 v[130:131], v[158:159], s[24:25]
	v_add_f64 v[148:149], v[148:149], -v[222:223]
	v_add_f64 v[70:71], v[100:101], v[84:85]
	s_waitcnt vmcnt(6)
	v_add_f64 v[160:161], v[174:175], v[160:161]
	v_add_f64 v[142:143], v[162:163], v[142:143]
	s_waitcnt vmcnt(4)
	v_add_f64 v[72:73], v[72:73], v[164:165]
	v_mul_f64 v[136:137], v[136:137], s[36:37]
	v_add_f64 v[94:95], v[104:105], v[94:95]
	v_mul_f64 v[104:105], v[158:159], s[20:21]
	v_mul_f64 v[158:159], v[158:159], s[4:5]
	v_add_f64 v[70:71], v[88:89], v[70:71]
	buffer_load_dword v88, off, s[64:67], 0 offset:228 ; 4-byte Folded Reload
	buffer_load_dword v89, off, s[64:67], 0 offset:232 ; 4-byte Folded Reload
	buffer_load_dword v8, off, s[64:67], 0 offset:380 ; 4-byte Folded Reload
	buffer_load_dword v9, off, s[64:67], 0 offset:384 ; 4-byte Folded Reload
	v_add_f64 v[96:97], v[142:143], v[96:97]
	v_mul_f64 v[162:163], v[180:181], s[20:21]
	v_add_f64 v[94:95], v[110:111], v[94:95]
	v_mul_f64 v[110:111], v[170:171], s[28:29]
	s_waitcnt vmcnt(4)
	v_add_f64 v[64:65], v[158:159], -v[64:65]
	v_mul_f64 v[166:167], v[178:179], s[28:29]
	v_mul_f64 v[142:143], v[170:171], s[10:11]
	;; [unrolled: 1-line block ×3, first 2 shown]
	v_add_f64 v[96:97], v[140:141], v[96:97]
	v_mul_f64 v[174:175], v[188:189], s[4:5]
	v_add_f64 v[94:95], v[106:107], v[94:95]
	v_mul_f64 v[106:107], v[190:191], s[36:37]
	v_mul_f64 v[140:141], v[190:191], s[4:5]
	;; [unrolled: 1-line block ×3, first 2 shown]
	v_add_f64 v[84:85], v[160:161], v[96:97]
	v_add_f64 v[94:95], v[148:149], v[94:95]
	;; [unrolled: 1-line block ×5, first 2 shown]
	s_waitcnt vmcnt(2)
	v_add_f64 v[88:89], v[88:89], v[168:169]
	s_waitcnt vmcnt(0)
	v_add_f64 v[84:85], v[176:177], -v[8:9]
	buffer_load_dword v8, off, s[64:67], 0 offset:252 ; 4-byte Folded Reload
	buffer_load_dword v9, off, s[64:67], 0 offset:256 ; 4-byte Folded Reload
	;; [unrolled: 1-line block ×10, first 2 shown]
	v_add_f64 v[72:73], v[88:89], v[72:73]
	buffer_load_dword v88, off, s[64:67], 0 offset:28 ; 4-byte Folded Reload
	buffer_load_dword v89, off, s[64:67], 0 offset:32 ; 4-byte Folded Reload
	s_waitcnt vmcnt(10)
	v_add_f64 v[8:9], v[170:171], -v[8:9]
	s_waitcnt vmcnt(8)
	v_add_f64 v[64:65], v[64:65], v[140:141]
	s_waitcnt vmcnt(6)
	v_add_f64 v[94:95], v[94:95], v[132:133]
	s_waitcnt vmcnt(4)
	v_add_f64 v[12:13], v[92:93], -v[12:13]
	s_waitcnt vmcnt(2)
	v_add_f64 v[14:15], v[98:99], -v[14:15]
	buffer_load_dword v92, off, s[64:67], 0 offset:356 ; 4-byte Folded Reload
	buffer_load_dword v93, off, s[64:67], 0 offset:360 ; 4-byte Folded Reload
	s_waitcnt vmcnt(2)
	v_add_f64 v[88:89], v[128:129], -v[88:89]
	v_add_f64 v[28:29], v[8:9], v[10:11]
	v_add_f64 v[6:7], v[64:65], v[72:73]
	;; [unrolled: 1-line block ×3, first 2 shown]
	buffer_load_dword v94, off, s[64:67], 0 offset:316 ; 4-byte Folded Reload
	buffer_load_dword v95, off, s[64:67], 0 offset:320 ; 4-byte Folded Reload
	v_add_f64 v[12:13], v[0:1], v[12:13]
	v_add_f64 v[0:1], v[0:1], v[14:15]
	buffer_load_dword v14, off, s[64:67], 0 offset:44 ; 4-byte Folded Reload
	buffer_load_dword v15, off, s[64:67], 0 offset:48 ; 4-byte Folded Reload
	;; [unrolled: 1-line block ×10, first 2 shown]
	v_add_f64 v[64:65], v[90:91], v[68:69]
	v_add_f64 v[0:1], v[88:89], v[0:1]
	s_waitcnt vmcnt(12)
	v_add_f64 v[92:93], v[92:93], v[134:135]
	s_waitcnt vmcnt(10)
	v_add_f64 v[94:95], v[108:109], -v[94:95]
	v_add_f64 v[2:3], v[92:93], v[2:3]
	s_waitcnt vmcnt(8)
	v_add_f64 v[14:15], v[144:145], -v[14:15]
	s_waitcnt vmcnt(6)
	v_add_f64 v[16:17], v[16:17], v[102:103]
	s_waitcnt vmcnt(4)
	v_add_f64 v[18:19], v[138:139], -v[18:19]
	s_waitcnt vmcnt(2)
	v_add_f64 v[20:21], v[136:137], -v[20:21]
	s_waitcnt vmcnt(0)
	v_add_f64 v[22:23], v[22:23], v[150:151]
	v_add_f64 v[12:13], v[94:95], v[12:13]
	v_add_f64 v[0:1], v[14:15], v[0:1]
	v_add_f64 v[2:3], v[16:17], v[2:3]
	buffer_load_dword v16, off, s[64:67], 0 offset:292 ; 4-byte Folded Reload
	buffer_load_dword v17, off, s[64:67], 0 offset:296 ; 4-byte Folded Reload
	;; [unrolled: 1-line block ×4, first 2 shown]
	v_add_f64 v[12:13], v[18:19], v[12:13]
	buffer_load_dword v18, off, s[64:67], 0 offset:340 ; 4-byte Folded Reload
	buffer_load_dword v19, off, s[64:67], 0 offset:344 ; 4-byte Folded Reload
	v_add_f64 v[0:1], v[20:21], v[0:1]
	v_add_f64 v[2:3], v[22:23], v[2:3]
	buffer_load_dword v22, off, s[64:67], 0 offset:300 ; 4-byte Folded Reload
	buffer_load_dword v23, off, s[64:67], 0 offset:304 ; 4-byte Folded Reload
	v_add_f64 v[20:21], v[216:217], v[162:163]
	s_waitcnt vmcnt(6)
	v_add_f64 v[16:17], v[146:147], -v[16:17]
	s_waitcnt vmcnt(4)
	v_add_f64 v[14:15], v[156:157], -v[14:15]
	s_waitcnt vmcnt(2)
	v_add_f64 v[18:19], v[18:19], v[154:155]
	v_add_f64 v[12:13], v[16:17], v[12:13]
	buffer_load_dword v16, off, s[64:67], 0 offset:92 ; 4-byte Folded Reload
	buffer_load_dword v17, off, s[64:67], 0 offset:96 ; 4-byte Folded Reload
	v_add_f64 v[0:1], v[14:15], v[0:1]
	s_waitcnt vmcnt(2)
	v_add_f64 v[22:23], v[152:153], -v[22:23]
	v_add_f64 v[2:3], v[18:19], v[2:3]
	buffer_load_dword v18, off, s[64:67], 0 offset:276 ; 4-byte Folded Reload
	buffer_load_dword v19, off, s[64:67], 0 offset:280 ; 4-byte Folded Reload
	;; [unrolled: 1-line block ×4, first 2 shown]
	v_add_f64 v[12:13], v[22:23], v[12:13]
	v_add_f64 v[2:3], v[20:21], v[2:3]
	buffer_load_dword v20, off, s[64:67], 0 offset:396 ; 4-byte Folded Reload
	buffer_load_dword v21, off, s[64:67], 0 offset:400 ; 4-byte Folded Reload
	v_add_f64 v[22:23], v[218:219], v[166:167]
	v_add_f64 v[22:23], v[22:23], v[2:3]
	;; [unrolled: 1-line block ×3, first 2 shown]
	s_waitcnt vmcnt(6)
	v_add_f64 v[16:17], v[130:131], -v[16:17]
	s_waitcnt vmcnt(4)
	v_add_f64 v[18:19], v[104:105], -v[18:19]
	;; [unrolled: 2-line block ×3, first 2 shown]
	v_add_f64 v[0:1], v[16:17], v[0:1]
	buffer_load_dword v16, off, s[64:67], 0 offset:124 ; 4-byte Folded Reload
	buffer_load_dword v17, off, s[64:67], 0 offset:128 ; 4-byte Folded Reload
	s_waitcnt vmcnt(2)
	v_add_f64 v[20:21], v[110:111], -v[20:21]
	v_add_f64 v[12:13], v[18:19], v[12:13]
	v_add_f64 v[18:19], v[78:79], v[106:107]
	;; [unrolled: 1-line block ×9, first 2 shown]
	s_waitcnt vmcnt(0)
	v_add_f64 v[16:17], v[174:175], -v[16:17]
	v_add_f64 v[4:5], v[16:17], v[0:1]
	v_add_f64 v[0:1], v[84:85], v[28:29]
	v_mul_lo_u16_e32 v16, 17, v184
	v_lshlrev_b32_e32 v16, 4, v16
	ds_write_b128 v16, v[12:15]
	ds_write_b128 v16, v[8:11] offset:16
	ds_write_b128 v16, v[4:7] offset:32
	;; [unrolled: 1-line block ×7, first 2 shown]
	buffer_load_dword v0, off, s[64:67], 0 offset:364 ; 4-byte Folded Reload
	buffer_load_dword v1, off, s[64:67], 0 offset:368 ; 4-byte Folded Reload
	;; [unrolled: 1-line block ×4, first 2 shown]
	s_waitcnt vmcnt(0)
	ds_write_b128 v16, v[0:3] offset:128
	buffer_load_dword v0, off, s[64:67], 0 offset:260 ; 4-byte Folded Reload
	buffer_load_dword v1, off, s[64:67], 0 offset:264 ; 4-byte Folded Reload
	;; [unrolled: 1-line block ×4, first 2 shown]
	s_waitcnt vmcnt(0)
	ds_write_b128 v16, v[0:3] offset:144
	ds_write_b128 v16, v[226:229] offset:160
	ds_write_b128 v16, v[60:63] offset:176
	ds_write_b128 v16, v[52:55] offset:192
	ds_write_b128 v16, v[124:127] offset:208
	ds_write_b128 v16, v[120:123] offset:224
	ds_write_b128 v16, v[116:119] offset:240
	ds_write_b128 v16, v[112:115] offset:256
.LBB0_7:
	s_or_b64 exec, exec, s[34:35]
	s_load_dwordx4 s[4:7], s[2:3], 0x0
	s_movk_i32 s2, 0xf1
	v_mul_lo_u16_sdwa v0, v184, s2 dst_sel:DWORD dst_unused:UNUSED_PAD src0_sel:BYTE_0 src1_sel:DWORD
	v_lshrrev_b16_e32 v12, 12, v0
	v_mul_lo_u16_e32 v0, 17, v12
	v_sub_u16_e32 v0, v184, v0
	v_and_b32_e32 v13, 0xff, v0
	v_mul_u32_u24_e32 v0, 12, v13
	v_lshlrev_b32_e32 v0, 4, v0
	s_waitcnt vmcnt(0) lgkmcnt(0)
	s_barrier
	global_load_dwordx4 v[76:79], v0, s[8:9]
	global_load_dwordx4 v[72:75], v0, s[8:9] offset:16
	global_load_dwordx4 v[44:47], v0, s[8:9] offset:32
	;; [unrolled: 1-line block ×11, first 2 shown]
	ds_read_b128 v[14:17], v255
	ds_read_b128 v[0:3], v255 offset:2448
	ds_read_b128 v[4:7], v255 offset:4896
	;; [unrolled: 1-line block ×12, first 2 shown]
	s_mov_b32 s23, 0xbfddbe06
	s_mov_b32 s22, 0x4267c47c
	;; [unrolled: 1-line block ×30, first 2 shown]
	v_mul_u32_u24_e32 v12, 0xdd, v12
	v_add_lshl_u32 v236, v12, v13, 4
	s_waitcnt vmcnt(11) lgkmcnt(11)
	v_mul_f64 v[22:23], v[2:3], v[78:79]
	s_waitcnt vmcnt(10) lgkmcnt(10)
	v_mul_f64 v[106:107], v[6:7], v[74:75]
	;; [unrolled: 2-line block ×4, first 2 shown]
	v_mul_f64 v[104:105], v[0:1], v[78:79]
	s_waitcnt vmcnt(6) lgkmcnt(6)
	v_mul_f64 v[138:139], v[42:43], v[50:51]
	s_waitcnt vmcnt(5) lgkmcnt(5)
	;; [unrolled: 2-line block ×3, first 2 shown]
	v_mul_f64 v[146:147], v[86:87], v[26:27]
	v_mul_f64 v[108:109], v[4:5], v[74:75]
	;; [unrolled: 1-line block ×7, first 2 shown]
	v_fma_f64 v[0:1], v[0:1], v[76:77], -v[22:23]
	v_fma_f64 v[22:23], v[4:5], v[72:73], -v[106:107]
	;; [unrolled: 1-line block ×3, first 2 shown]
	buffer_store_dword v44, off, s[64:67], 0 offset:76 ; 4-byte Folded Spill
	s_nop 0
	buffer_store_dword v45, off, s[64:67], 0 offset:80 ; 4-byte Folded Spill
	buffer_store_dword v46, off, s[64:67], 0 offset:84 ; 4-byte Folded Spill
	buffer_store_dword v47, off, s[64:67], 0 offset:88 ; 4-byte Folded Spill
	v_fma_f64 v[18:19], v[18:19], v[32:33], -v[130:131]
	buffer_store_dword v32, off, s[64:67], 0 offset:44 ; 4-byte Folded Spill
	s_nop 0
	buffer_store_dword v33, off, s[64:67], 0 offset:48 ; 4-byte Folded Spill
	buffer_store_dword v34, off, s[64:67], 0 offset:52 ; 4-byte Folded Spill
	;; [unrolled: 1-line block ×3, first 2 shown]
	v_fma_f64 v[4:5], v[40:41], v[48:49], -v[138:139]
	v_fma_f64 v[8:9], v[80:81], v[36:37], -v[142:143]
	buffer_store_dword v36, off, s[64:67], 0 offset:60 ; 4-byte Folded Spill
	s_nop 0
	buffer_store_dword v37, off, s[64:67], 0 offset:64 ; 4-byte Folded Spill
	buffer_store_dword v38, off, s[64:67], 0 offset:68 ; 4-byte Folded Spill
	;; [unrolled: 1-line block ×3, first 2 shown]
	v_fma_f64 v[40:41], v[84:85], v[24:25], -v[146:147]
	buffer_store_dword v24, off, s[64:67], 0 offset:28 ; 4-byte Folded Spill
	s_nop 0
	buffer_store_dword v25, off, s[64:67], 0 offset:32 ; 4-byte Folded Spill
	buffer_store_dword v26, off, s[64:67], 0 offset:36 ; 4-byte Folded Spill
	;; [unrolled: 1-line block ×3, first 2 shown]
	v_fma_f64 v[2:3], v[2:3], v[76:77], v[104:105]
	v_fma_f64 v[104:105], v[6:7], v[72:73], v[108:109]
	;; [unrolled: 1-line block ×3, first 2 shown]
	v_add_f64 v[84:85], v[14:15], v[0:1]
	v_mul_f64 v[134:135], v[30:31], v[70:71]
	v_mul_f64 v[136:137], v[28:29], v[70:71]
	s_waitcnt vmcnt(19) lgkmcnt(3)
	v_mul_f64 v[150:151], v[90:91], v[66:67]
	v_mul_f64 v[152:153], v[88:89], v[66:67]
	s_waitcnt vmcnt(16) lgkmcnt(0)
	v_mul_f64 v[162:163], v[102:103], v[62:63]
	v_mul_f64 v[164:165], v[100:101], v[62:63]
	;; [unrolled: 1-line block ×3, first 2 shown]
	v_add_f64 v[84:85], v[84:85], v[22:23]
	v_fma_f64 v[28:29], v[28:29], v[68:69], -v[134:135]
	v_fma_f64 v[30:31], v[30:31], v[68:69], v[136:137]
	v_fma_f64 v[80:81], v[88:89], v[64:65], -v[150:151]
	v_mul_f64 v[156:157], v[92:93], v[58:59]
	v_fma_f64 v[88:89], v[100:101], v[60:61], -v[162:163]
	v_mul_f64 v[158:159], v[98:99], v[54:55]
	v_mul_f64 v[160:161], v[96:97], v[54:55]
	v_add_f64 v[84:85], v[84:85], v[106:107]
	v_fma_f64 v[92:93], v[92:93], v[56:57], -v[154:155]
	s_waitcnt vmcnt(0)
	s_barrier
	v_fma_f64 v[94:95], v[94:95], v[56:57], v[156:157]
	v_add_f64 v[100:101], v[0:1], v[88:89]
	v_add_f64 v[0:1], v[0:1], -v[88:89]
	v_fma_f64 v[96:97], v[96:97], v[52:53], -v[158:159]
	v_add_f64 v[84:85], v[84:85], v[18:19]
	v_fma_f64 v[98:99], v[98:99], v[52:53], v[160:161]
	v_mul_f64 v[136:137], v[0:1], s[30:31]
	v_mul_f64 v[140:141], v[0:1], s[38:39]
	v_add_f64 v[84:85], v[84:85], v[28:29]
	v_add_f64 v[110:111], v[22:23], v[96:97]
	v_add_f64 v[22:23], v[22:23], -v[96:97]
	v_add_f64 v[84:85], v[84:85], v[4:5]
	v_mul_f64 v[156:157], v[22:23], s[30:31]
	v_add_f64 v[84:85], v[84:85], v[8:9]
	v_add_f64 v[84:85], v[84:85], v[40:41]
	;; [unrolled: 1-line block ×3, first 2 shown]
	v_fma_f64 v[108:109], v[10:11], v[44:45], v[128:129]
	v_add_f64 v[128:129], v[104:105], v[98:99]
	v_fma_f64 v[20:21], v[20:21], v[32:33], v[132:133]
	v_mul_f64 v[132:133], v[0:1], s[22:23]
	v_fma_f64 v[10:11], v[82:83], v[36:37], v[144:145]
	v_fma_f64 v[82:83], v[90:91], v[64:65], v[152:153]
	;; [unrolled: 1-line block ×3, first 2 shown]
	v_add_f64 v[86:87], v[16:17], v[2:3]
	v_fma_f64 v[90:91], v[102:103], v[60:61], v[164:165]
	v_mul_f64 v[144:145], v[0:1], s[20:21]
	v_mul_f64 v[148:149], v[0:1], s[26:27]
	;; [unrolled: 1-line block ×3, first 2 shown]
	v_add_f64 v[86:87], v[86:87], v[104:105]
	v_add_f64 v[102:103], v[2:3], v[90:91]
	v_add_f64 v[2:3], v[2:3], -v[90:91]
	v_add_f64 v[104:105], v[104:105], -v[98:99]
	v_add_f64 v[86:87], v[86:87], v[108:109]
	v_fma_f64 v[160:161], v[102:103], s[10:11], v[136:137]
	v_mul_f64 v[130:131], v[2:3], s[22:23]
	v_mul_f64 v[134:135], v[2:3], s[30:31]
	;; [unrolled: 1-line block ×6, first 2 shown]
	v_add_f64 v[86:87], v[86:87], v[20:21]
	v_fma_f64 v[2:3], v[102:103], s[18:19], v[132:133]
	v_fma_f64 v[0:1], v[100:101], s[18:19], -v[130:131]
	v_mul_f64 v[154:155], v[104:105], s[30:31]
	v_fma_f64 v[130:131], v[100:101], s[18:19], v[130:131]
	v_fma_f64 v[132:133], v[102:103], s[18:19], -v[132:133]
	v_fma_f64 v[158:159], v[100:101], s[10:11], -v[134:135]
	v_fma_f64 v[134:135], v[100:101], s[10:11], v[134:135]
	v_add_f64 v[86:87], v[86:87], v[30:31]
	v_add_f64 v[176:177], v[16:17], v[2:3]
	;; [unrolled: 1-line block ×4, first 2 shown]
	v_fma_f64 v[136:137], v[102:103], s[10:11], -v[136:137]
	v_fma_f64 v[162:163], v[100:101], s[2:3], -v[138:139]
	v_fma_f64 v[164:165], v[102:103], s[2:3], v[140:141]
	v_fma_f64 v[138:139], v[100:101], s[2:3], v[138:139]
	v_add_f64 v[86:87], v[86:87], v[6:7]
	v_fma_f64 v[140:141], v[102:103], s[2:3], -v[140:141]
	v_fma_f64 v[166:167], v[100:101], s[16:17], -v[142:143]
	v_add_f64 v[0:1], v[0:1], v[96:97]
	v_fma_f64 v[168:169], v[102:103], s[16:17], v[144:145]
	v_fma_f64 v[142:143], v[100:101], s[16:17], v[142:143]
	v_fma_f64 v[144:145], v[102:103], s[16:17], -v[144:145]
	v_fma_f64 v[170:171], v[100:101], s[24:25], -v[146:147]
	v_add_f64 v[86:87], v[86:87], v[10:11]
	v_fma_f64 v[172:173], v[102:103], s[24:25], v[148:149]
	v_fma_f64 v[146:147], v[100:101], s[24:25], v[146:147]
	v_fma_f64 v[148:149], v[102:103], s[24:25], -v[148:149]
	v_add_f64 v[0:1], v[0:1], v[88:89]
	v_fma_f64 v[88:89], v[100:101], s[28:29], -v[150:151]
	v_fma_f64 v[100:101], v[100:101], s[28:29], v[150:151]
	v_add_f64 v[130:131], v[14:15], v[130:131]
	v_add_f64 v[86:87], v[86:87], v[42:43]
	v_add_f64 v[132:133], v[16:17], v[132:133]
	v_add_f64 v[158:159], v[14:15], v[158:159]
	v_add_f64 v[160:161], v[16:17], v[160:161]
	v_add_f64 v[84:85], v[14:15], v[134:135]
	v_add_f64 v[134:135], v[14:15], v[162:163]
	v_add_f64 v[138:139], v[14:15], v[138:139]
	v_add_f64 v[140:141], v[16:17], v[140:141]
	v_add_f64 v[86:87], v[86:87], v[82:83]
	v_add_f64 v[96:97], v[14:15], v[166:167]
	v_add_f64 v[142:143], v[14:15], v[142:143]
	v_add_f64 v[144:145], v[16:17], v[144:145]
	v_add_f64 v[162:163], v[14:15], v[170:171]
	v_add_f64 v[146:147], v[14:15], v[146:147]
	v_add_f64 v[148:149], v[16:17], v[148:149]
	v_fma_f64 v[150:151], v[110:111], s[10:11], -v[154:155]
	v_add_f64 v[2:3], v[86:87], v[94:95]
	v_add_f64 v[86:87], v[16:17], v[136:137]
	;; [unrolled: 1-line block ×6, first 2 shown]
	v_mul_f64 v[100:101], v[104:105], s[20:21]
	v_mul_f64 v[166:167], v[104:105], s[34:35]
	v_add_f64 v[2:3], v[2:3], v[98:99]
	v_add_f64 v[98:99], v[16:17], v[168:169]
	v_mul_f64 v[168:169], v[22:23], s[34:35]
	v_add_f64 v[150:151], v[150:151], v[174:175]
	v_fma_f64 v[154:155], v[110:111], s[10:11], v[154:155]
	s_mov_b32 s23, 0x3fddbe06
	v_fma_f64 v[170:171], v[110:111], s[16:17], -v[100:101]
	v_fma_f64 v[100:101], v[110:111], s[16:17], v[100:101]
	v_add_f64 v[2:3], v[2:3], v[90:91]
	v_fma_f64 v[90:91], v[102:103], s[28:29], v[152:153]
	v_fma_f64 v[102:103], v[102:103], s[28:29], -v[152:153]
	v_fma_f64 v[152:153], v[128:129], s[10:11], v[156:157]
	v_fma_f64 v[174:175], v[110:111], s[28:29], -v[166:167]
	v_fma_f64 v[156:157], v[128:129], s[10:11], -v[156:157]
	v_add_f64 v[130:131], v[154:155], v[130:131]
	v_add_f64 v[154:155], v[170:171], v[158:159]
	;; [unrolled: 1-line block ×5, first 2 shown]
	v_mul_f64 v[102:103], v[22:23], s[20:21]
	v_add_f64 v[152:153], v[152:153], v[176:177]
	v_fma_f64 v[176:177], v[128:129], s[28:29], v[168:169]
	v_add_f64 v[100:101], v[174:175], v[134:135]
	v_mul_f64 v[134:135], v[104:105], s[40:41]
	v_mul_f64 v[158:159], v[104:105], s[36:37]
	v_add_f64 v[132:133], v[156:157], v[132:133]
	v_mul_f64 v[104:105], v[104:105], s[22:23]
	v_fma_f64 v[172:173], v[128:129], s[16:17], v[102:103]
	v_fma_f64 v[102:103], v[128:129], s[16:17], -v[102:103]
	v_fma_f64 v[170:171], v[110:111], s[24:25], -v[134:135]
	v_fma_f64 v[134:135], v[110:111], s[24:25], v[134:135]
	v_fma_f64 v[174:175], v[110:111], s[2:3], -v[158:159]
	v_fma_f64 v[158:159], v[110:111], s[2:3], v[158:159]
	v_add_f64 v[156:157], v[172:173], v[160:161]
	v_add_f64 v[86:87], v[102:103], v[86:87]
	;; [unrolled: 1-line block ×3, first 2 shown]
	v_mul_f64 v[136:137], v[22:23], s[40:41]
	v_fma_f64 v[160:161], v[110:111], s[28:29], v[166:167]
	v_fma_f64 v[166:167], v[128:129], s[28:29], -v[168:169]
	v_mul_f64 v[168:169], v[22:23], s[36:37]
	v_add_f64 v[134:135], v[134:135], v[142:143]
	v_add_f64 v[142:143], v[174:175], v[162:163]
	v_add_f64 v[162:163], v[106:107], -v[92:93]
	v_mul_f64 v[22:23], v[22:23], s[22:23]
	v_fma_f64 v[172:173], v[128:129], s[24:25], v[136:137]
	v_fma_f64 v[136:137], v[128:129], s[24:25], -v[136:137]
	v_add_f64 v[138:139], v[160:161], v[138:139]
	v_fma_f64 v[160:161], v[128:129], s[2:3], v[168:169]
	v_add_f64 v[92:93], v[106:107], v[92:93]
	v_add_f64 v[140:141], v[166:167], v[140:141]
	v_fma_f64 v[166:167], v[110:111], s[18:19], -v[104:105]
	v_fma_f64 v[104:105], v[110:111], s[18:19], v[104:105]
	v_add_f64 v[146:147], v[158:159], v[146:147]
	v_add_f64 v[136:137], v[136:137], v[144:145]
	v_add_f64 v[144:145], v[108:109], -v[94:95]
	v_add_f64 v[94:95], v[108:109], v[94:95]
	v_mul_f64 v[108:109], v[162:163], s[38:39]
	v_add_f64 v[160:161], v[160:161], v[164:165]
	v_fma_f64 v[164:165], v[128:129], s[2:3], -v[168:169]
	v_fma_f64 v[168:169], v[128:129], s[18:19], v[22:23]
	v_fma_f64 v[22:23], v[128:129], s[18:19], -v[22:23]
	v_add_f64 v[14:15], v[104:105], v[14:15]
	v_mul_f64 v[106:107], v[144:145], s[38:39]
	v_add_f64 v[96:97], v[170:171], v[96:97]
	v_fma_f64 v[128:129], v[94:95], s[2:3], v[108:109]
	v_fma_f64 v[108:109], v[94:95], s[2:3], -v[108:109]
	v_add_f64 v[148:149], v[164:165], v[148:149]
	v_add_f64 v[98:99], v[172:173], v[98:99]
	;; [unrolled: 1-line block ×4, first 2 shown]
	v_fma_f64 v[110:111], v[92:93], s[2:3], -v[106:107]
	v_fma_f64 v[106:107], v[92:93], s[2:3], v[106:107]
	v_add_f64 v[104:105], v[128:129], v[152:153]
	v_mul_f64 v[128:129], v[162:163], s[34:35]
	v_mul_f64 v[152:153], v[162:163], s[42:43]
	v_add_f64 v[108:109], v[108:109], v[132:133]
	v_add_f64 v[90:91], v[168:169], v[90:91]
	;; [unrolled: 1-line block ×3, first 2 shown]
	v_mul_f64 v[110:111], v[144:145], s[34:35]
	v_mul_f64 v[150:151], v[144:145], s[42:43]
	v_fma_f64 v[164:165], v[94:95], s[28:29], v[128:129]
	v_fma_f64 v[128:129], v[94:95], s[28:29], -v[128:129]
	v_add_f64 v[106:107], v[106:107], v[130:131]
	v_fma_f64 v[132:133], v[94:95], s[16:17], v[152:153]
	v_fma_f64 v[158:159], v[92:93], s[28:29], -v[110:111]
	v_fma_f64 v[110:111], v[92:93], s[28:29], v[110:111]
	v_fma_f64 v[130:131], v[92:93], s[16:17], -v[150:151]
	v_add_f64 v[86:87], v[128:129], v[86:87]
	v_mul_f64 v[128:129], v[162:163], s[22:23]
	v_add_f64 v[156:157], v[164:165], v[156:157]
	v_add_f64 v[102:103], v[132:133], v[102:103]
	v_fma_f64 v[132:133], v[94:95], s[16:17], -v[152:153]
	v_add_f64 v[154:155], v[158:159], v[154:155]
	v_add_f64 v[84:85], v[110:111], v[84:85]
	v_mul_f64 v[110:111], v[144:145], s[22:23]
	v_add_f64 v[100:101], v[130:131], v[100:101]
	v_fma_f64 v[130:131], v[92:93], s[16:17], v[150:151]
	v_mul_f64 v[150:151], v[144:145], s[30:31]
	v_mul_f64 v[152:153], v[162:163], s[30:31]
	v_fma_f64 v[164:165], v[94:95], s[18:19], v[128:129]
	v_fma_f64 v[128:129], v[94:95], s[18:19], -v[128:129]
	v_add_f64 v[132:133], v[132:133], v[140:141]
	v_fma_f64 v[158:159], v[92:93], s[18:19], -v[110:111]
	v_fma_f64 v[110:111], v[92:93], s[18:19], v[110:111]
	v_add_f64 v[130:131], v[130:131], v[138:139]
	v_fma_f64 v[138:139], v[92:93], s[10:11], -v[150:151]
	v_fma_f64 v[140:141], v[94:95], s[10:11], v[152:153]
	v_fma_f64 v[150:151], v[92:93], s[10:11], v[150:151]
	v_add_f64 v[128:129], v[128:129], v[136:137]
	v_mul_f64 v[136:137], v[162:163], s[26:27]
	v_add_f64 v[96:97], v[158:159], v[96:97]
	v_add_f64 v[110:111], v[110:111], v[134:135]
	v_mul_f64 v[134:135], v[144:145], s[26:27]
	v_add_f64 v[138:139], v[138:139], v[142:143]
	v_add_f64 v[142:143], v[20:21], -v[82:83]
	v_add_f64 v[144:145], v[18:19], -v[80:81]
	v_add_f64 v[140:141], v[140:141], v[160:161]
	v_fma_f64 v[152:153], v[94:95], s[10:11], -v[152:153]
	v_fma_f64 v[160:161], v[94:95], s[24:25], v[136:137]
	v_add_f64 v[18:19], v[18:19], v[80:81]
	v_fma_f64 v[158:159], v[92:93], s[24:25], -v[134:135]
	v_add_f64 v[20:21], v[20:21], v[82:83]
	v_mul_f64 v[80:81], v[142:143], s[20:21]
	v_mul_f64 v[82:83], v[144:145], s[20:21]
	v_fma_f64 v[92:93], v[92:93], s[24:25], v[134:135]
	v_fma_f64 v[94:95], v[94:95], s[24:25], -v[136:137]
	v_add_f64 v[134:135], v[150:151], v[146:147]
	v_add_f64 v[136:137], v[152:153], v[148:149]
	;; [unrolled: 1-line block ×4, first 2 shown]
	v_fma_f64 v[146:147], v[18:19], s[16:17], -v[80:81]
	v_fma_f64 v[148:149], v[20:21], s[16:17], v[82:83]
	v_add_f64 v[14:15], v[92:93], v[14:15]
	v_add_f64 v[16:17], v[94:95], v[16:17]
	v_mul_f64 v[92:93], v[142:143], s[40:41]
	v_mul_f64 v[94:95], v[144:145], s[40:41]
	v_fma_f64 v[80:81], v[18:19], s[16:17], v[80:81]
	v_fma_f64 v[82:83], v[20:21], s[16:17], -v[82:83]
	v_add_f64 v[22:23], v[146:147], v[22:23]
	v_add_f64 v[104:105], v[148:149], v[104:105]
	v_mul_f64 v[146:147], v[142:143], s[22:23]
	v_mul_f64 v[148:149], v[144:145], s[22:23]
	v_fma_f64 v[150:151], v[18:19], s[24:25], -v[92:93]
	v_fma_f64 v[152:153], v[20:21], s[24:25], v[94:95]
	v_add_f64 v[80:81], v[80:81], v[106:107]
	v_add_f64 v[82:83], v[82:83], v[108:109]
	v_fma_f64 v[92:93], v[18:19], s[24:25], v[92:93]
	v_fma_f64 v[94:95], v[20:21], s[24:25], -v[94:95]
	v_fma_f64 v[106:107], v[18:19], s[18:19], -v[146:147]
	v_fma_f64 v[108:109], v[20:21], s[18:19], v[148:149]
	v_add_f64 v[150:151], v[150:151], v[154:155]
	v_add_f64 v[152:153], v[152:153], v[156:157]
	v_mul_f64 v[154:155], v[142:143], s[38:39]
	v_mul_f64 v[156:157], v[144:145], s[38:39]
	s_mov_b32 s41, 0x3fcea1e5
	s_mov_b32 s40, s34
	v_add_f64 v[84:85], v[92:93], v[84:85]
	v_add_f64 v[86:87], v[94:95], v[86:87]
	;; [unrolled: 1-line block ×4, first 2 shown]
	v_fma_f64 v[100:101], v[18:19], s[18:19], v[146:147]
	v_fma_f64 v[102:103], v[20:21], s[18:19], -v[148:149]
	v_fma_f64 v[106:107], v[18:19], s[2:3], -v[154:155]
	v_fma_f64 v[108:109], v[20:21], s[2:3], v[156:157]
	v_mul_f64 v[146:147], v[142:143], s[40:41]
	v_mul_f64 v[148:149], v[144:145], s[40:41]
	s_mov_b32 s39, 0x3fea55e2
	s_mov_b32 s38, s30
	v_add_f64 v[100:101], v[100:101], v[130:131]
	v_add_f64 v[102:103], v[102:103], v[132:133]
	;; [unrolled: 1-line block ×4, first 2 shown]
	v_fma_f64 v[106:107], v[18:19], s[28:29], -v[146:147]
	v_fma_f64 v[108:109], v[20:21], s[28:29], v[148:149]
	v_mul_f64 v[130:131], v[142:143], s[38:39]
	v_mul_f64 v[132:133], v[144:145], s[38:39]
	v_fma_f64 v[142:143], v[18:19], s[28:29], v[146:147]
	v_fma_f64 v[144:145], v[20:21], s[28:29], -v[148:149]
	v_fma_f64 v[154:155], v[18:19], s[2:3], v[154:155]
	v_fma_f64 v[156:157], v[20:21], s[2:3], -v[156:157]
	v_add_f64 v[106:107], v[106:107], v[138:139]
	v_add_f64 v[108:109], v[108:109], v[140:141]
	v_add_f64 v[138:139], v[30:31], -v[42:43]
	v_add_f64 v[140:141], v[28:29], -v[40:41]
	v_add_f64 v[28:29], v[28:29], v[40:41]
	v_add_f64 v[30:31], v[30:31], v[42:43]
	v_fma_f64 v[146:147], v[18:19], s[10:11], -v[130:131]
	v_fma_f64 v[148:149], v[20:21], s[10:11], v[132:133]
	v_fma_f64 v[18:19], v[18:19], s[10:11], v[130:131]
	v_fma_f64 v[20:21], v[20:21], s[10:11], -v[132:133]
	v_mul_f64 v[40:41], v[138:139], s[26:27]
	v_mul_f64 v[42:43], v[140:141], s[26:27]
	v_add_f64 v[130:131], v[142:143], v[134:135]
	v_add_f64 v[132:133], v[144:145], v[136:137]
	;; [unrolled: 1-line block ×6, first 2 shown]
	v_fma_f64 v[134:135], v[28:29], s[24:25], -v[40:41]
	v_fma_f64 v[136:137], v[30:31], s[24:25], v[42:43]
	v_mul_f64 v[18:19], v[138:139], s[36:37]
	v_mul_f64 v[20:21], v[140:141], s[36:37]
	v_fma_f64 v[40:41], v[28:29], s[24:25], v[40:41]
	v_fma_f64 v[42:43], v[30:31], s[24:25], -v[42:43]
	v_add_f64 v[90:91], v[148:149], v[90:91]
	v_mul_f64 v[146:147], v[138:139], s[40:41]
	v_add_f64 v[22:23], v[134:135], v[22:23]
	v_add_f64 v[104:105], v[136:137], v[104:105]
	v_mul_f64 v[134:135], v[138:139], s[30:31]
	v_mul_f64 v[136:137], v[140:141], s[30:31]
	v_fma_f64 v[142:143], v[28:29], s[2:3], -v[18:19]
	v_fma_f64 v[144:145], v[30:31], s[2:3], v[20:21]
	v_add_f64 v[40:41], v[40:41], v[80:81]
	v_add_f64 v[42:43], v[42:43], v[82:83]
	v_fma_f64 v[18:19], v[28:29], s[2:3], v[18:19]
	v_fma_f64 v[20:21], v[30:31], s[2:3], -v[20:21]
	v_fma_f64 v[80:81], v[28:29], s[10:11], -v[134:135]
	v_fma_f64 v[82:83], v[30:31], s[10:11], v[136:137]
	v_mul_f64 v[148:149], v[140:141], s[40:41]
	v_add_f64 v[110:111], v[154:155], v[110:111]
	v_add_f64 v[128:129], v[156:157], v[128:129]
	;; [unrolled: 1-line block ×7, first 2 shown]
	v_fma_f64 v[84:85], v[28:29], s[10:11], v[134:135]
	v_fma_f64 v[86:87], v[30:31], s[10:11], -v[136:137]
	v_fma_f64 v[92:93], v[28:29], s[28:29], -v[146:147]
	v_fma_f64 v[94:95], v[30:31], s[28:29], v[148:149]
	v_mul_f64 v[134:135], v[138:139], s[22:23]
	v_mul_f64 v[136:137], v[140:141], s[22:23]
	v_fma_f64 v[146:147], v[28:29], s[28:29], v[146:147]
	v_fma_f64 v[148:149], v[30:31], s[28:29], -v[148:149]
	v_add_f64 v[84:85], v[84:85], v[100:101]
	v_add_f64 v[86:87], v[86:87], v[102:103]
	;; [unrolled: 1-line block ×4, first 2 shown]
	v_fma_f64 v[96:97], v[28:29], s[18:19], -v[134:135]
	v_fma_f64 v[98:99], v[30:31], s[18:19], v[136:137]
	v_add_f64 v[100:101], v[146:147], v[110:111]
	v_add_f64 v[102:103], v[148:149], v[128:129]
	v_fma_f64 v[110:111], v[28:29], s[18:19], v[134:135]
	v_fma_f64 v[128:129], v[30:31], s[18:19], -v[136:137]
	v_mul_f64 v[134:135], v[138:139], s[20:21]
	v_mul_f64 v[136:137], v[140:141], s[20:21]
	v_add_f64 v[96:97], v[96:97], v[106:107]
	v_add_f64 v[98:99], v[98:99], v[108:109]
	v_add_f64 v[106:107], v[6:7], -v[10:11]
	v_add_f64 v[108:109], v[4:5], -v[8:9]
	v_add_f64 v[110:111], v[110:111], v[130:131]
	v_add_f64 v[132:133], v[128:129], v[132:133]
	v_fma_f64 v[128:129], v[28:29], s[16:17], -v[134:135]
	v_fma_f64 v[130:131], v[30:31], s[16:17], v[136:137]
	v_add_f64 v[148:149], v[4:5], v[8:9]
	v_add_f64 v[150:151], v[6:7], v[10:11]
	v_mul_f64 v[4:5], v[106:107], s[34:35]
	v_mul_f64 v[6:7], v[108:109], s[34:35]
	v_fma_f64 v[8:9], v[28:29], s[16:17], v[134:135]
	v_fma_f64 v[10:11], v[30:31], s[16:17], -v[136:137]
	v_add_f64 v[88:89], v[128:129], v[88:89]
	v_add_f64 v[90:91], v[130:131], v[90:91]
	v_mul_f64 v[28:29], v[106:107], s[22:23]
	v_mul_f64 v[30:31], v[108:109], s[22:23]
	v_fma_f64 v[128:129], v[148:149], s[28:29], -v[4:5]
	v_fma_f64 v[130:131], v[150:151], s[28:29], v[6:7]
	v_add_f64 v[144:145], v[144:145], v[152:153]
	v_add_f64 v[134:135], v[8:9], v[14:15]
	;; [unrolled: 1-line block ×3, first 2 shown]
	v_fma_f64 v[8:9], v[148:149], s[28:29], v[4:5]
	v_fma_f64 v[10:11], v[150:151], s[28:29], -v[6:7]
	v_fma_f64 v[14:15], v[148:149], s[18:19], -v[28:29]
	v_fma_f64 v[16:17], v[150:151], s[18:19], v[30:31]
	v_add_f64 v[4:5], v[128:129], v[22:23]
	v_add_f64 v[6:7], v[130:131], v[104:105]
	v_mul_f64 v[22:23], v[106:107], s[26:27]
	v_mul_f64 v[104:105], v[108:109], s[26:27]
	v_add_f64 v[128:129], v[8:9], v[40:41]
	v_add_f64 v[130:131], v[10:11], v[42:43]
	v_add_f64 v[8:9], v[14:15], v[142:143]
	v_add_f64 v[10:11], v[16:17], v[144:145]
	v_fma_f64 v[14:15], v[148:149], s[18:19], v[28:29]
	v_fma_f64 v[16:17], v[150:151], s[18:19], -v[30:31]
	v_fma_f64 v[28:29], v[148:149], s[24:25], -v[22:23]
	v_fma_f64 v[30:31], v[150:151], s[24:25], v[104:105]
	v_mul_f64 v[40:41], v[106:107], s[38:39]
	v_fma_f64 v[22:23], v[148:149], s[24:25], v[22:23]
	v_mul_f64 v[42:43], v[108:109], s[38:39]
	v_fma_f64 v[104:105], v[150:151], s[24:25], -v[104:105]
	v_add_f64 v[140:141], v[14:15], v[18:19]
	v_add_f64 v[142:143], v[16:17], v[20:21]
	;; [unrolled: 1-line block ×4, first 2 shown]
	v_fma_f64 v[18:19], v[148:149], s[10:11], -v[40:41]
	v_add_f64 v[136:137], v[22:23], v[84:85]
	v_fma_f64 v[22:23], v[148:149], s[10:11], v[40:41]
	v_mul_f64 v[30:31], v[106:107], s[20:21]
	v_mul_f64 v[40:41], v[108:109], s[20:21]
	v_fma_f64 v[20:21], v[150:151], s[10:11], v[42:43]
	v_fma_f64 v[28:29], v[150:151], s[10:11], -v[42:43]
	v_mul_f64 v[42:43], v[106:107], s[36:37]
	v_mul_f64 v[80:81], v[108:109], s[36:37]
	v_add_f64 v[18:19], v[18:19], v[92:93]
	v_add_f64 v[144:145], v[22:23], v[100:101]
	v_fma_f64 v[22:23], v[148:149], s[16:17], -v[30:31]
	v_fma_f64 v[82:83], v[150:151], s[16:17], v[40:41]
	v_add_f64 v[20:21], v[20:21], v[94:95]
	v_add_f64 v[138:139], v[104:105], v[86:87]
	v_fma_f64 v[92:93], v[148:149], s[2:3], -v[42:43]
	v_fma_f64 v[94:95], v[150:151], s[2:3], v[80:81]
	v_add_f64 v[146:147], v[28:29], v[102:103]
	v_fma_f64 v[84:85], v[148:149], s[16:17], v[30:31]
	v_fma_f64 v[86:87], v[150:151], s[16:17], -v[40:41]
	v_fma_f64 v[100:101], v[148:149], s[2:3], v[42:43]
	v_fma_f64 v[102:103], v[150:151], s[2:3], -v[80:81]
	v_add_f64 v[28:29], v[22:23], v[96:97]
	v_add_f64 v[30:31], v[82:83], v[98:99]
	;; [unrolled: 1-line block ×8, first 2 shown]
	ds_write_b128 v236, v[0:3]
	ds_write_b128 v236, v[4:7] offset:272
	ds_write_b128 v236, v[8:11] offset:544
	;; [unrolled: 1-line block ×12, first 2 shown]
	s_waitcnt lgkmcnt(0)
	s_barrier
	ds_read_b128 v[132:135], v255
	ds_read_b128 v[180:183], v255 offset:3536
	ds_read_b128 v[176:179], v255 offset:7072
	ds_read_b128 v[172:175], v255 offset:10608
	ds_read_b128 v[168:171], v255 offset:14144
	ds_read_b128 v[164:167], v255 offset:17680
	ds_read_b128 v[160:163], v255 offset:21216
	ds_read_b128 v[156:159], v255 offset:24752
	ds_read_b128 v[152:155], v255 offset:28288
	s_movk_i32 s2, 0x44
	v_cmp_gt_u16_e64 s[2:3], s2, v184
                                        ; implicit-def: $vgpr148_vgpr149
	s_and_saveexec_b64 s[10:11], s[2:3]
	s_cbranch_execz .LBB0_9
; %bb.8:
	ds_read_b128 v[144:147], v255 offset:2448
	ds_read_b128 v[136:139], v255 offset:5984
	;; [unrolled: 1-line block ×9, first 2 shown]
.LBB0_9:
	s_or_b64 exec, exec, s[10:11]
	s_movk_i32 s10, 0x99
	v_add_co_u32_e32 v0, vcc, s10, v184
	v_addc_co_u32_e64 v1, s[10:11], 0, 0, vcc
	v_lshlrev_b32_e32 v2, 7, v184
	s_movk_i32 s10, 0xffbc
	global_load_dwordx4 v[80:83], v2, s[8:9] offset:3312
	global_load_dwordx4 v[84:87], v2, s[8:9] offset:3296
	;; [unrolled: 1-line block ×8, first 2 shown]
	v_add_co_u32_e32 v2, vcc, s10, v184
	v_addc_co_u32_e64 v3, s[10:11], 0, -1, vcc
	v_cndmask_b32_e64 v1, v3, v1, s[2:3]
	v_cndmask_b32_e64 v0, v2, v0, s[2:3]
	v_lshlrev_b64 v[0:1], 7, v[0:1]
	v_mov_b32_e32 v2, s9
	v_add_co_u32_e32 v0, vcc, s8, v0
	v_addc_co_u32_e32 v1, vcc, v2, v1, vcc
	global_load_dwordx4 v[32:35], v[0:1], off offset:3264
	global_load_dwordx4 v[216:219], v[0:1], off offset:3280
	;; [unrolled: 1-line block ×8, first 2 shown]
	s_mov_b32 s18, 0x523c161c
	s_mov_b32 s19, 0x3fe491b7
	;; [unrolled: 1-line block ×18, first 2 shown]
	s_waitcnt vmcnt(15) lgkmcnt(4)
	v_mul_f64 v[12:13], v[170:171], v[82:83]
	s_waitcnt vmcnt(14)
	v_mul_f64 v[8:9], v[174:175], v[86:87]
	s_waitcnt vmcnt(13)
	;; [unrolled: 2-line block ×3, first 2 shown]
	v_mul_f64 v[0:1], v[182:183], v[94:95]
	s_waitcnt vmcnt(11) lgkmcnt(0)
	v_mul_f64 v[40:41], v[154:155], v[102:103]
	s_waitcnt vmcnt(10)
	v_mul_f64 v[28:29], v[158:159], v[106:107]
	v_mul_f64 v[2:3], v[180:181], v[94:95]
	;; [unrolled: 1-line block ×5, first 2 shown]
	v_fma_f64 v[4:5], v[176:177], v[88:89], -v[4:5]
	v_fma_f64 v[0:1], v[180:181], v[92:93], -v[0:1]
	;; [unrolled: 1-line block ×3, first 2 shown]
	s_waitcnt vmcnt(7)
	v_mul_f64 v[184:185], v[138:139], v[34:35]
	s_waitcnt vmcnt(6)
	v_mul_f64 v[188:189], v[142:143], v[218:219]
	;; [unrolled: 2-line block ×5, first 2 shown]
	v_mul_f64 v[186:187], v[136:137], v[34:35]
	v_mul_f64 v[190:191], v[140:141], v[218:219]
	;; [unrolled: 1-line block ×5, first 2 shown]
	s_waitcnt vmcnt(2)
	v_mul_f64 v[204:205], v[118:119], v[226:227]
	v_fma_f64 v[28:29], v[156:157], v[104:105], -v[28:29]
	v_fma_f64 v[136:137], v[136:137], v[32:33], -v[184:185]
	buffer_store_dword v32, off, s[64:67], 0 offset:108 ; 4-byte Folded Spill
	s_nop 0
	buffer_store_dword v33, off, s[64:67], 0 offset:112 ; 4-byte Folded Spill
	buffer_store_dword v34, off, s[64:67], 0 offset:116 ; 4-byte Folded Spill
	buffer_store_dword v35, off, s[64:67], 0 offset:120 ; 4-byte Folded Spill
	v_fma_f64 v[140:141], v[140:141], v[216:217], -v[188:189]
	buffer_store_dword v216, off, s[64:67], 0 offset:140 ; 4-byte Folded Spill
	s_nop 0
	buffer_store_dword v217, off, s[64:67], 0 offset:144 ; 4-byte Folded Spill
	buffer_store_dword v218, off, s[64:67], 0 offset:148 ; 4-byte Folded Spill
	buffer_store_dword v219, off, s[64:67], 0 offset:152 ; 4-byte Folded Spill
	;; [unrolled: 6-line block ×5, first 2 shown]
	v_mul_f64 v[206:207], v[116:117], v[226:227]
	v_fma_f64 v[176:177], v[116:117], v[224:225], -v[204:205]
	buffer_store_dword v224, off, s[64:67], 0 offset:172 ; 4-byte Folded Spill
	s_nop 0
	buffer_store_dword v225, off, s[64:67], 0 offset:176 ; 4-byte Folded Spill
	buffer_store_dword v226, off, s[64:67], 0 offset:180 ; 4-byte Folded Spill
	;; [unrolled: 1-line block ×3, first 2 shown]
	v_mul_f64 v[20:21], v[162:163], v[98:99]
	v_fma_f64 v[2:3], v[182:183], v[92:93], v[2:3]
	v_fma_f64 v[42:43], v[154:155], v[100:101], v[42:43]
	v_mul_f64 v[10:11], v[172:173], v[86:87]
	v_mul_f64 v[14:15], v[168:169], v[82:83]
	;; [unrolled: 1-line block ×5, first 2 shown]
	v_fma_f64 v[6:7], v[178:179], v[88:89], v[6:7]
	v_fma_f64 v[20:21], v[160:161], v[96:97], -v[20:21]
	v_fma_f64 v[30:31], v[158:159], v[104:105], v[30:31]
	v_add_f64 v[160:161], v[2:3], -v[42:43]
	v_fma_f64 v[8:9], v[172:173], v[84:85], -v[8:9]
	v_fma_f64 v[10:11], v[174:175], v[84:85], v[10:11]
	v_fma_f64 v[12:13], v[168:169], v[80:81], -v[12:13]
	v_fma_f64 v[14:15], v[170:171], v[80:81], v[14:15]
	;; [unrolled: 2-line block ×3, first 2 shown]
	v_fma_f64 v[22:23], v[162:163], v[96:97], v[22:23]
	v_add_f64 v[158:159], v[0:1], -v[40:41]
	v_add_f64 v[128:129], v[6:7], -v[30:31]
	v_add_f64 v[0:1], v[0:1], v[40:41]
	v_add_f64 v[116:117], v[4:5], -v[28:29]
	v_add_f64 v[40:41], v[8:9], -v[20:21]
	v_add_f64 v[2:3], v[2:3], v[42:43]
	v_add_f64 v[4:5], v[4:5], v[28:29]
	;; [unrolled: 1-line block ×3, first 2 shown]
	v_add_f64 v[20:21], v[12:13], -v[16:17]
	v_add_f64 v[172:173], v[14:15], v[18:19]
	v_fma_f64 v[42:43], v[0:1], s[20:21], v[132:133]
	v_add_f64 v[6:7], v[6:7], v[30:31]
	v_add_f64 v[30:31], v[14:15], -v[18:19]
	s_waitcnt vmcnt(25)
	v_mul_f64 v[208:209], v[114:115], v[234:235]
	s_waitcnt vmcnt(24)
	v_mul_f64 v[212:213], v[150:151], v[222:223]
	v_mul_f64 v[210:211], v[112:113], v[234:235]
	;; [unrolled: 1-line block ×3, first 2 shown]
	v_fma_f64 v[164:165], v[172:173], s[20:21], v[134:135]
	v_fma_f64 v[42:43], v[4:5], s[22:23], v[42:43]
	v_mul_f64 v[120:121], v[158:159], s[18:19]
	v_mul_f64 v[124:125], v[30:31], s[24:25]
	v_fma_f64 v[112:113], v[112:113], v[232:233], -v[208:209]
	buffer_store_dword v232, off, s[64:67], 0 offset:204 ; 4-byte Folded Spill
	s_nop 0
	buffer_store_dword v233, off, s[64:67], 0 offset:208 ; 4-byte Folded Spill
	buffer_store_dword v234, off, s[64:67], 0 offset:212 ; 4-byte Folded Spill
	;; [unrolled: 1-line block ×3, first 2 shown]
	v_add_f64 v[184:185], v[20:21], v[158:159]
	v_fma_f64 v[164:165], v[2:3], s[22:23], v[164:165]
	v_fma_f64 v[42:43], v[8:9], -0.5, v[42:43]
	v_fma_f64 v[120:121], v[116:117], s[10:11], v[120:121]
	v_fma_f64 v[124:125], v[160:161], s[10:11], v[124:125]
	;; [unrolled: 1-line block ×3, first 2 shown]
	v_add_f64 v[186:187], v[30:31], v[160:161]
	v_fma_f64 v[142:143], v[142:143], v[216:217], v[190:191]
	v_fma_f64 v[154:155], v[130:131], v[24:25], v[194:195]
	v_add_f64 v[130:131], v[12:13], v[16:17]
	v_fma_f64 v[162:163], v[126:127], v[36:37], v[198:199]
	v_fma_f64 v[182:183], v[122:123], v[228:229], v[202:203]
	v_mul_f64 v[122:123], v[160:161], s[18:19]
	v_fma_f64 v[178:179], v[118:119], v[224:225], v[206:207]
	v_add_f64 v[118:119], v[10:11], -v[22:23]
	v_fma_f64 v[126:127], v[130:131], s[20:21], v[132:133]
	v_add_f64 v[10:11], v[10:11], v[22:23]
	v_fma_f64 v[42:43], v[130:131], s[28:29], v[42:43]
	v_fma_f64 v[22:23], v[40:41], s[8:9], v[120:121]
	;; [unrolled: 1-line block ×6, first 2 shown]
	v_fma_f64 v[164:165], v[10:11], -0.5, v[164:165]
	v_add_f64 v[190:191], v[134:135], v[10:11]
	v_fma_f64 v[22:23], v[20:21], s[16:17], v[22:23]
	v_fma_f64 v[28:29], v[118:119], s[8:9], v[122:123]
	v_mul_f64 v[122:123], v[20:21], s[24:25]
	v_fma_f64 v[120:121], v[6:7], s[22:23], v[120:121]
	v_fma_f64 v[124:125], v[128:129], s[16:17], v[124:125]
	v_fma_f64 v[126:127], v[8:9], -0.5, v[126:127]
	v_mul_f64 v[20:21], v[20:21], s[10:11]
	v_fma_f64 v[28:29], v[30:31], s[16:17], v[28:29]
	v_fma_f64 v[122:123], v[158:159], s[10:11], v[122:123]
	v_fma_f64 v[120:121], v[10:11], -0.5, v[120:121]
	v_mul_f64 v[30:31], v[30:31], s[10:11]
	v_fma_f64 v[20:21], v[116:117], s[24:25], -v[20:21]
	v_fma_f64 v[122:123], v[40:41], s[26:27], v[122:123]
	v_fma_f64 v[120:121], v[172:173], s[28:29], v[120:121]
	v_fma_f64 v[30:31], v[128:129], s[24:25], -v[30:31]
	v_fma_f64 v[20:21], v[40:41], s[8:9], v[20:21]
	v_add_f64 v[40:41], v[152:153], -v[176:177]
	v_fma_f64 v[174:175], v[116:117], s[16:17], v[122:123]
	v_fma_f64 v[122:123], v[4:5], s[28:29], v[126:127]
	v_fma_f64 v[126:127], v[6:7], s[28:29], v[164:165]
	v_add_f64 v[164:165], v[28:29], v[42:43]
	v_fma_f64 v[42:43], v[148:149], v[220:221], -v[212:213]
	buffer_store_dword v220, off, s[64:67], 0 offset:156 ; 4-byte Folded Spill
	s_nop 0
	buffer_store_dword v221, off, s[64:67], 0 offset:160 ; 4-byte Folded Spill
	buffer_store_dword v222, off, s[64:67], 0 offset:164 ; 4-byte Folded Spill
	;; [unrolled: 1-line block ×3, first 2 shown]
	v_add_f64 v[166:167], v[120:121], -v[22:23]
	v_fma_f64 v[114:115], v[114:115], v[232:233], v[210:211]
	v_add_f64 v[168:169], v[124:125], v[122:123]
	v_add_f64 v[170:171], v[126:127], -v[174:175]
	v_fma_f64 v[120:121], v[28:29], -2.0, v[164:165]
	v_add_f64 v[28:29], v[6:7], v[2:3]
	v_fma_f64 v[6:7], v[6:7], s[20:21], v[134:135]
	v_fma_f64 v[122:123], v[22:23], 2.0, v[166:167]
	v_add_f64 v[22:23], v[4:5], v[0:1]
	v_fma_f64 v[4:5], v[4:5], s[20:21], v[132:133]
	v_fma_f64 v[124:125], v[124:125], -2.0, v[168:169]
	v_fma_f64 v[126:127], v[174:175], 2.0, v[170:171]
	v_add_f64 v[174:175], v[132:133], v[8:9]
	v_add_f64 v[194:195], v[172:173], v[28:29]
	;; [unrolled: 1-line block ×3, first 2 shown]
	v_fma_f64 v[6:7], v[172:173], s[22:23], v[6:7]
	v_add_f64 v[192:193], v[130:131], v[22:23]
	v_add_f64 v[22:23], v[8:9], v[22:23]
	v_fma_f64 v[4:5], v[130:131], s[22:23], v[4:5]
	v_fma_f64 v[190:191], v[194:195], -0.5, v[190:191]
	v_add_f64 v[14:15], v[14:15], v[28:29]
	v_fma_f64 v[6:7], v[10:11], -0.5, v[6:7]
	v_add_f64 v[28:29], v[140:141], -v[112:113]
	v_add_f64 v[12:13], v[12:13], v[22:23]
	v_fma_f64 v[4:5], v[8:9], -0.5, v[4:5]
	v_fma_f64 v[22:23], v[118:119], s[8:9], v[30:31]
	v_add_f64 v[30:31], v[142:143], -v[114:115]
	v_fma_f64 v[174:175], v[192:193], -0.5, v[174:175]
	v_add_f64 v[14:15], v[18:19], v[14:15]
	v_fma_f64 v[2:3], v[2:3], s[28:29], v[6:7]
	v_fma_f64 v[8:9], v[158:159], s[16:17], v[20:21]
	v_add_f64 v[12:13], v[16:17], v[12:13]
	v_fma_f64 v[0:1], v[0:1], s[28:29], v[4:5]
	v_add_f64 v[4:5], v[136:137], v[42:43]
	v_add_f64 v[16:17], v[136:137], -v[42:43]
	v_fma_f64 v[10:11], v[160:161], s[16:17], v[22:23]
	v_add_f64 v[118:119], v[134:135], v[14:15]
	v_add_f64 v[14:15], v[142:143], v[114:115]
	;; [unrolled: 1-line block ×4, first 2 shown]
	v_add_f64 v[42:43], v[154:155], -v[178:179]
	v_add_f64 v[142:143], v[162:163], -v[182:183]
	v_fma_f64 v[148:149], v[150:151], v[220:221], v[214:215]
	v_add_f64 v[150:151], v[184:185], -v[116:117]
	v_add_f64 v[116:117], v[132:133], v[12:13]
	v_add_f64 v[12:13], v[140:141], v[112:113]
	v_mul_f64 v[112:113], v[16:17], s[18:19]
	v_fma_f64 v[132:133], v[4:5], s[20:21], v[144:145]
	v_add_f64 v[184:185], v[186:187], -v[128:129]
	v_add_f64 v[140:141], v[156:157], -v[180:181]
	v_add_f64 v[6:7], v[138:139], v[148:149]
	v_add_f64 v[18:19], v[138:139], -v[148:149]
	v_mul_f64 v[186:187], v[150:151], s[8:9]
	v_add_f64 v[148:149], v[156:157], v[180:181]
	v_fma_f64 v[112:113], v[28:29], s[10:11], v[112:113]
	v_fma_f64 v[132:133], v[12:13], s[22:23], v[132:133]
	v_fma_f64 v[172:173], v[184:185], s[8:9], v[174:175]
	v_fma_f64 v[174:175], v[150:151], s[26:27], v[190:191]
	v_fma_f64 v[134:135], v[6:7], s[20:21], v[146:147]
	v_mul_f64 v[114:115], v[18:19], s[18:19]
	v_add_f64 v[150:151], v[162:163], v[182:183]
	v_mul_f64 v[136:137], v[140:141], s[24:25]
	v_fma_f64 v[112:113], v[40:41], s[8:9], v[112:113]
	v_fma_f64 v[132:133], v[20:21], -0.5, v[132:133]
	v_mul_f64 v[138:139], v[142:143], s[24:25]
	v_fma_f64 v[152:153], v[148:149], s[20:21], v[144:145]
	v_fma_f64 v[134:135], v[14:15], s[22:23], v[134:135]
	;; [unrolled: 1-line block ×4, first 2 shown]
	v_mul_f64 v[188:189], v[184:185], s[8:9]
	v_fma_f64 v[112:113], v[140:141], s[16:17], v[112:113]
	v_fma_f64 v[132:133], v[148:149], s[28:29], v[132:133]
	v_fma_f64 v[130:131], v[186:187], 2.0, v[174:175]
	v_fma_f64 v[136:137], v[16:17], s[10:11], v[136:137]
	v_fma_f64 v[134:135], v[22:23], -0.5, v[134:135]
	v_fma_f64 v[114:115], v[42:43], s[8:9], v[114:115]
	v_fma_f64 v[138:139], v[18:19], s[10:11], v[138:139]
	;; [unrolled: 1-line block ×4, first 2 shown]
	v_add_f64 v[184:185], v[10:11], v[0:1]
	v_add_f64 v[186:187], v[2:3], -v[8:9]
	v_fma_f64 v[136:137], v[40:41], s[26:27], v[136:137]
	v_fma_f64 v[134:135], v[150:151], s[28:29], v[134:135]
	;; [unrolled: 1-line block ×4, first 2 shown]
	v_fma_f64 v[152:153], v[20:21], -0.5, v[152:153]
	v_fma_f64 v[154:155], v[22:23], -0.5, v[154:155]
	;; [unrolled: 1-line block ×3, first 2 shown]
	v_fma_f64 v[178:179], v[8:9], 2.0, v[186:187]
	v_add_f64 v[8:9], v[140:141], v[16:17]
	v_add_f64 v[134:135], v[134:135], -v[112:113]
	v_add_f64 v[132:133], v[114:115], v[132:133]
	v_add_f64 v[10:11], v[142:143], v[18:19]
	v_fma_f64 v[0:1], v[28:29], s[16:17], v[136:137]
	v_fma_f64 v[2:3], v[30:31], s[16:17], v[138:139]
	;; [unrolled: 1-line block ×4, first 2 shown]
	v_add_f64 v[8:9], v[8:9], -v[28:29]
	v_fma_f64 v[26:27], v[112:113], 2.0, v[134:135]
	v_fma_f64 v[24:25], v[114:115], -2.0, v[132:133]
	v_mul_f64 v[112:113], v[140:141], s[10:11]
	v_mul_f64 v[114:115], v[142:143], s[10:11]
	v_fma_f64 v[140:141], v[12:13], s[20:21], v[144:145]
	v_fma_f64 v[142:143], v[14:15], s[20:21], v[146:147]
	v_add_f64 v[10:11], v[10:11], -v[30:31]
	v_add_f64 v[12:13], v[12:13], v[4:5]
	v_add_f64 v[14:15], v[14:15], v[6:7]
	;; [unrolled: 1-line block ×3, first 2 shown]
	v_fma_f64 v[28:29], v[28:29], s[24:25], -v[112:113]
	v_fma_f64 v[30:31], v[30:31], s[24:25], -v[114:115]
	v_fma_f64 v[140:141], v[148:149], s[22:23], v[140:141]
	v_fma_f64 v[142:143], v[150:151], s[22:23], v[142:143]
	v_add_f64 v[112:113], v[144:145], v[20:21]
	v_add_f64 v[114:115], v[146:147], v[22:23]
	;; [unrolled: 1-line block ×4, first 2 shown]
	v_fma_f64 v[28:29], v[40:41], s[8:9], v[28:29]
	v_fma_f64 v[30:31], v[42:43], s[8:9], v[30:31]
	v_add_f64 v[12:13], v[20:21], v[12:13]
	v_add_f64 v[14:15], v[22:23], v[14:15]
	v_fma_f64 v[20:21], v[20:21], -0.5, v[140:141]
	v_fma_f64 v[22:23], v[22:23], -0.5, v[142:143]
	;; [unrolled: 1-line block ×4, first 2 shown]
	v_fma_f64 v[16:17], v[16:17], s[16:17], v[28:29]
	v_fma_f64 v[18:19], v[18:19], s[16:17], v[30:31]
	v_add_f64 v[12:13], v[156:157], v[12:13]
	v_add_f64 v[14:15], v[162:163], v[14:15]
	v_fma_f64 v[4:5], v[4:5], s[28:29], v[20:21]
	v_fma_f64 v[6:7], v[6:7], s[28:29], v[22:23]
	v_add_f64 v[138:139], v[138:139], -v[0:1]
	v_mul_f64 v[20:21], v[8:9], s[8:9]
	v_mul_f64 v[22:23], v[10:11], s[8:9]
	v_fma_f64 v[140:141], v[10:11], s[8:9], v[40:41]
	v_fma_f64 v[142:143], v[8:9], s[26:27], v[42:43]
	v_add_f64 v[8:9], v[180:181], v[12:13]
	v_add_f64 v[10:11], v[182:183], v[14:15]
	;; [unrolled: 1-line block ×3, first 2 shown]
	v_add_f64 v[150:151], v[6:7], -v[16:17]
	v_fma_f64 v[128:129], v[188:189], -2.0, v[172:173]
	v_fma_f64 v[156:157], v[2:3], -2.0, v[136:137]
	v_fma_f64 v[158:159], v[0:1], 2.0, v[138:139]
	v_fma_f64 v[152:153], v[22:23], -2.0, v[140:141]
	v_fma_f64 v[154:155], v[20:21], 2.0, v[142:143]
	v_add_f64 v[144:145], v[144:145], v[8:9]
	v_add_f64 v[146:147], v[146:147], v[10:11]
	v_fma_f64 v[160:161], v[18:19], -2.0, v[148:149]
	v_fma_f64 v[162:163], v[16:17], 2.0, v[150:151]
	buffer_store_dword v24, off, s[64:67], 0 offset:12 ; 4-byte Folded Spill
	s_nop 0
	buffer_store_dword v25, off, s[64:67], 0 offset:16 ; 4-byte Folded Spill
	buffer_store_dword v26, off, s[64:67], 0 offset:20 ; 4-byte Folded Spill
	;; [unrolled: 1-line block ×3, first 2 shown]
	ds_write_b128 v255, v[116:119]
	ds_write_b128 v255, v[164:167] offset:3536
	ds_write_b128 v255, v[168:171] offset:7072
	;; [unrolled: 1-line block ×8, first 2 shown]
	s_and_saveexec_b64 s[8:9], s[2:3]
	s_cbranch_execz .LBB0_11
; %bb.10:
	ds_write_b128 v255, v[144:147] offset:2448
	ds_write_b128 v255, v[132:135] offset:5984
	;; [unrolled: 1-line block ×8, first 2 shown]
	buffer_load_dword v0, off, s[64:67], 0 offset:12 ; 4-byte Folded Reload
	buffer_load_dword v1, off, s[64:67], 0 offset:16 ; 4-byte Folded Reload
	;; [unrolled: 1-line block ×4, first 2 shown]
	s_waitcnt vmcnt(0)
	ds_write_b128 v255, v[0:3] offset:30736
.LBB0_11:
	s_or_b64 exec, exec, s[8:9]
	s_waitcnt vmcnt(0) lgkmcnt(0)
	s_barrier
	s_and_saveexec_b64 s[8:9], s[0:1]
	s_cbranch_execz .LBB0_13
; %bb.12:
	v_add_co_u32_e32 v0, vcc, s12, v255
	v_mov_b32_e32 v1, s13
	v_addc_co_u32_e32 v1, vcc, 0, v1, vcc
	v_add_co_u32_e32 v14, vcc, 0x7c50, v0
	v_addc_co_u32_e32 v15, vcc, 0, v1, vcc
	v_add_co_u32_e32 v6, vcc, 0x7000, v0
	v_addc_co_u32_e32 v7, vcc, 0, v1, vcc
	global_load_dwordx4 v[6:9], v[6:7], off offset:3152
	ds_read_b128 v[2:5], v255
	s_mov_b32 s10, 0x9000
	s_waitcnt vmcnt(0) lgkmcnt(0)
	v_mul_f64 v[10:11], v[4:5], v[8:9]
	v_fma_f64 v[10:11], v[2:3], v[6:7], -v[10:11]
	v_mul_f64 v[2:3], v[2:3], v[8:9]
	v_fma_f64 v[12:13], v[4:5], v[6:7], v[2:3]
	global_load_dwordx4 v[6:9], v[14:15], off offset:1872
	ds_read_b128 v[2:5], v255 offset:1872
	ds_write_b128 v255, v[10:13]
	s_waitcnt vmcnt(0) lgkmcnt(1)
	v_mul_f64 v[10:11], v[4:5], v[8:9]
	v_fma_f64 v[10:11], v[2:3], v[6:7], -v[10:11]
	v_mul_f64 v[2:3], v[2:3], v[8:9]
	v_fma_f64 v[12:13], v[4:5], v[6:7], v[2:3]
	global_load_dwordx4 v[6:9], v[14:15], off offset:3744
	ds_read_b128 v[2:5], v255 offset:3744
	v_add_co_u32_e32 v14, vcc, s10, v0
	v_addc_co_u32_e32 v15, vcc, 0, v1, vcc
	s_mov_b32 s10, 0xa000
	ds_write_b128 v255, v[10:13] offset:1872
	s_waitcnt vmcnt(0) lgkmcnt(1)
	v_mul_f64 v[10:11], v[4:5], v[8:9]
	v_fma_f64 v[10:11], v[2:3], v[6:7], -v[10:11]
	v_mul_f64 v[2:3], v[2:3], v[8:9]
	v_fma_f64 v[12:13], v[4:5], v[6:7], v[2:3]
	global_load_dwordx4 v[6:9], v[14:15], off offset:576
	ds_read_b128 v[2:5], v255 offset:5616
	ds_write_b128 v255, v[10:13] offset:3744
	s_waitcnt vmcnt(0) lgkmcnt(1)
	v_mul_f64 v[10:11], v[4:5], v[8:9]
	v_fma_f64 v[10:11], v[2:3], v[6:7], -v[10:11]
	v_mul_f64 v[2:3], v[2:3], v[8:9]
	v_fma_f64 v[12:13], v[4:5], v[6:7], v[2:3]
	global_load_dwordx4 v[6:9], v[14:15], off offset:2448
	ds_read_b128 v[2:5], v255 offset:7488
	v_add_co_u32_e32 v14, vcc, s10, v0
	v_addc_co_u32_e32 v15, vcc, 0, v1, vcc
	s_mov_b32 s10, 0xb000
	ds_write_b128 v255, v[10:13] offset:5616
	s_waitcnt vmcnt(0) lgkmcnt(1)
	v_mul_f64 v[10:11], v[4:5], v[8:9]
	v_fma_f64 v[10:11], v[2:3], v[6:7], -v[10:11]
	v_mul_f64 v[2:3], v[2:3], v[8:9]
	v_fma_f64 v[12:13], v[4:5], v[6:7], v[2:3]
	global_load_dwordx4 v[6:9], v[14:15], off offset:224
	ds_read_b128 v[2:5], v255 offset:9360
	ds_write_b128 v255, v[10:13] offset:7488
	s_waitcnt vmcnt(0) lgkmcnt(1)
	v_mul_f64 v[10:11], v[4:5], v[8:9]
	v_fma_f64 v[10:11], v[2:3], v[6:7], -v[10:11]
	v_mul_f64 v[2:3], v[2:3], v[8:9]
	v_fma_f64 v[12:13], v[4:5], v[6:7], v[2:3]
	global_load_dwordx4 v[6:9], v[14:15], off offset:2096
	ds_read_b128 v[2:5], v255 offset:11232
	ds_write_b128 v255, v[10:13] offset:9360
	s_waitcnt vmcnt(0) lgkmcnt(1)
	v_mul_f64 v[10:11], v[4:5], v[8:9]
	v_fma_f64 v[10:11], v[2:3], v[6:7], -v[10:11]
	v_mul_f64 v[2:3], v[2:3], v[8:9]
	v_fma_f64 v[12:13], v[4:5], v[6:7], v[2:3]
	global_load_dwordx4 v[6:9], v[14:15], off offset:3968
	ds_read_b128 v[2:5], v255 offset:13104
	v_add_co_u32_e32 v14, vcc, s10, v0
	v_addc_co_u32_e32 v15, vcc, 0, v1, vcc
	s_mov_b32 s10, 0xc000
	ds_write_b128 v255, v[10:13] offset:11232
	s_waitcnt vmcnt(0) lgkmcnt(1)
	v_mul_f64 v[10:11], v[4:5], v[8:9]
	v_fma_f64 v[10:11], v[2:3], v[6:7], -v[10:11]
	v_mul_f64 v[2:3], v[2:3], v[8:9]
	v_fma_f64 v[12:13], v[4:5], v[6:7], v[2:3]
	global_load_dwordx4 v[6:9], v[14:15], off offset:1744
	ds_read_b128 v[2:5], v255 offset:14976
	ds_write_b128 v255, v[10:13] offset:13104
	s_waitcnt vmcnt(0) lgkmcnt(1)
	v_mul_f64 v[10:11], v[4:5], v[8:9]
	v_fma_f64 v[10:11], v[2:3], v[6:7], -v[10:11]
	v_mul_f64 v[2:3], v[2:3], v[8:9]
	v_fma_f64 v[12:13], v[4:5], v[6:7], v[2:3]
	global_load_dwordx4 v[6:9], v[14:15], off offset:3616
	ds_read_b128 v[2:5], v255 offset:16848
	v_add_co_u32_e32 v14, vcc, s10, v0
	v_addc_co_u32_e32 v15, vcc, 0, v1, vcc
	s_mov_b32 s10, 0xd000
	ds_write_b128 v255, v[10:13] offset:14976
	s_waitcnt vmcnt(0) lgkmcnt(1)
	v_mul_f64 v[10:11], v[4:5], v[8:9]
	v_fma_f64 v[10:11], v[2:3], v[6:7], -v[10:11]
	v_mul_f64 v[2:3], v[2:3], v[8:9]
	v_fma_f64 v[12:13], v[4:5], v[6:7], v[2:3]
	global_load_dwordx4 v[6:9], v[14:15], off offset:1392
	ds_read_b128 v[2:5], v255 offset:18720
	ds_write_b128 v255, v[10:13] offset:16848
	s_waitcnt vmcnt(0) lgkmcnt(1)
	v_mul_f64 v[10:11], v[4:5], v[8:9]
	v_fma_f64 v[10:11], v[2:3], v[6:7], -v[10:11]
	v_mul_f64 v[2:3], v[2:3], v[8:9]
	v_fma_f64 v[12:13], v[4:5], v[6:7], v[2:3]
	global_load_dwordx4 v[6:9], v[14:15], off offset:3264
	ds_read_b128 v[2:5], v255 offset:20592
	;; [unrolled: 19-line block ×3, first 2 shown]
	v_add_co_u32_e32 v14, vcc, s10, v0
	v_addc_co_u32_e32 v15, vcc, 0, v1, vcc
	s_mov_b32 s10, 0xf000
	ds_write_b128 v255, v[10:13] offset:22464
	v_add_co_u32_e32 v0, vcc, s10, v0
	v_addc_co_u32_e32 v1, vcc, 0, v1, vcc
	s_waitcnt vmcnt(0) lgkmcnt(1)
	v_mul_f64 v[10:11], v[4:5], v[8:9]
	v_fma_f64 v[10:11], v[2:3], v[6:7], -v[10:11]
	v_mul_f64 v[2:3], v[2:3], v[8:9]
	v_fma_f64 v[12:13], v[4:5], v[6:7], v[2:3]
	global_load_dwordx4 v[6:9], v[14:15], off offset:688
	ds_read_b128 v[2:5], v255 offset:26208
	ds_write_b128 v255, v[10:13] offset:24336
	s_waitcnt vmcnt(0) lgkmcnt(1)
	v_mul_f64 v[10:11], v[4:5], v[8:9]
	v_fma_f64 v[10:11], v[2:3], v[6:7], -v[10:11]
	v_mul_f64 v[2:3], v[2:3], v[8:9]
	v_fma_f64 v[12:13], v[4:5], v[6:7], v[2:3]
	global_load_dwordx4 v[6:9], v[14:15], off offset:2560
	ds_read_b128 v[2:5], v255 offset:28080
	ds_write_b128 v255, v[10:13] offset:26208
	;; [unrolled: 8-line block ×3, first 2 shown]
	s_waitcnt vmcnt(0) lgkmcnt(1)
	v_mul_f64 v[0:1], v[4:5], v[8:9]
	v_fma_f64 v[0:1], v[2:3], v[6:7], -v[0:1]
	v_mul_f64 v[2:3], v[2:3], v[8:9]
	v_fma_f64 v[2:3], v[4:5], v[6:7], v[2:3]
	ds_write_b128 v255, v[0:3] offset:29952
.LBB0_13:
	s_or_b64 exec, exec, s[8:9]
	s_waitcnt lgkmcnt(0)
	s_barrier
	s_and_saveexec_b64 s[8:9], s[0:1]
	s_cbranch_execz .LBB0_15
; %bb.14:
	ds_read_b128 v[116:119], v255
	ds_read_b128 v[164:167], v255 offset:1872
	ds_read_b128 v[168:171], v255 offset:3744
	;; [unrolled: 1-line block ×16, first 2 shown]
.LBB0_15:
	s_or_b64 exec, exec, s[8:9]
	s_waitcnt lgkmcnt(0)
	v_add_f64 v[249:250], v[166:167], -v[158:159]
	v_add_f64 v[232:233], v[166:167], v[158:159]
	s_mov_b32 s16, 0x75d4884
	s_mov_b32 s24, 0x7c9e640b
	;; [unrolled: 1-line block ×4, first 2 shown]
	v_add_f64 v[247:248], v[170:171], -v[154:155]
	v_add_f64 v[251:252], v[170:171], v[154:155]
	v_mul_f64 v[8:9], v[249:250], s[24:25]
	v_mul_f64 v[6:7], v[232:233], s[16:17]
	s_mov_b32 s10, 0x2b2883cd
	s_mov_b32 s20, 0x3259b75e
	;; [unrolled: 1-line block ×6, first 2 shown]
	buffer_store_dword v6, off, s[64:67], 0 offset:228 ; 4-byte Folded Spill
	s_nop 0
	buffer_store_dword v7, off, s[64:67], 0 offset:232 ; 4-byte Folded Spill
	buffer_store_dword v8, off, s[64:67], 0 offset:236 ; 4-byte Folded Spill
	s_nop 0
	buffer_store_dword v9, off, s[64:67], 0 offset:240 ; 4-byte Folded Spill
	v_mul_f64 v[10:11], v[232:233], s[10:11]
	v_mul_f64 v[18:19], v[251:252], s[20:21]
	;; [unrolled: 1-line block ×3, first 2 shown]
	buffer_store_dword v10, off, s[64:67], 0 offset:324 ; 4-byte Folded Spill
	s_nop 0
	buffer_store_dword v11, off, s[64:67], 0 offset:328 ; 4-byte Folded Spill
	buffer_store_dword v18, off, s[64:67], 0 offset:276 ; 4-byte Folded Spill
	s_nop 0
	buffer_store_dword v19, off, s[64:67], 0 offset:280 ; 4-byte Folded Spill
	;; [unrolled: 3-line block ×3, first 2 shown]
	s_mov_b32 s26, 0x2a9d6da3
	s_mov_b32 s27, 0xbfe58eea
	v_add_f64 v[237:238], v[164:165], v[156:157]
	v_add_f64 v[241:242], v[164:165], -v[156:157]
	v_mul_f64 v[32:33], v[249:250], s[26:27]
	s_mov_b32 s30, 0xeb564b22
	s_mov_b32 s31, 0xbfefdd0d
	v_add_f64 v[218:219], v[168:169], v[152:153]
	v_add_f64 v[220:221], v[168:169], -v[152:153]
	v_mul_f64 v[38:39], v[247:248], s[30:31]
	s_mov_b32 s18, 0x6ed5f1bb
	s_mov_b32 s19, 0xbfe348c8
	v_fma_f64 v[4:5], v[237:238], s[16:17], -v[32:33]
	v_mul_f64 v[22:23], v[251:252], s[18:19]
	v_add_f64 v[234:235], v[174:175], -v[162:163]
	v_add_f64 v[204:205], v[174:175], v[162:163]
	s_mov_b32 s34, 0xacd6c6b4
	v_fma_f64 v[16:17], v[218:219], s[20:21], -v[38:39]
	s_mov_b32 s35, 0xbfc7851a
	s_mov_b32 s51, 0x3fc7851a
	v_add_f64 v[4:5], v[116:117], v[4:5]
	s_mov_b32 s50, s34
	buffer_store_dword v22, off, s[64:67], 0 offset:380 ; 4-byte Folded Spill
	s_nop 0
	buffer_store_dword v23, off, s[64:67], 0 offset:384 ; 4-byte Folded Spill
	s_mov_b32 s8, 0x370991
	s_mov_b32 s9, 0x3fedd6d0
	v_mul_f64 v[26:27], v[232:233], s[8:9]
	s_mov_b32 s22, 0x5d8e7cdc
	s_mov_b32 s23, 0xbfd71e95
	v_add_f64 v[4:5], v[16:17], v[4:5]
	v_mul_f64 v[16:17], v[234:235], s[28:29]
	buffer_store_dword v16, off, s[64:67], 0 offset:220 ; 4-byte Folded Spill
	s_nop 0
	buffer_store_dword v17, off, s[64:67], 0 offset:224 ; 4-byte Folded Spill
	v_fma_f64 v[2:3], v[241:242], s[22:23], v[26:27]
	v_mul_f64 v[36:37], v[251:252], s[16:17]
	v_add_f64 v[239:240], v[172:173], v[160:161]
	v_add_f64 v[245:246], v[172:173], -v[160:161]
	v_mul_f64 v[42:43], v[204:205], s[10:11]
	s_mov_b32 s36, 0x7faef3
	s_mov_b32 s37, 0xbfef7484
	v_add_f64 v[226:227], v[186:187], -v[150:151]
	v_add_f64 v[2:3], v[118:119], v[2:3]
	v_fma_f64 v[14:15], v[220:221], s[26:27], v[36:37]
	v_add_f64 v[208:209], v[186:187], v[150:151]
	v_mul_f64 v[24:25], v[249:250], s[22:23]
	v_mul_f64 v[34:35], v[247:248], s[26:27]
	;; [unrolled: 1-line block ×3, first 2 shown]
	v_add_f64 v[222:223], v[184:185], v[148:149]
	v_add_f64 v[224:225], v[184:185], -v[148:149]
	s_mov_b32 s38, 0x923c349f
	v_add_f64 v[2:3], v[14:15], v[2:3]
	v_fma_f64 v[14:15], v[245:246], s[24:25], v[42:43]
	v_fma_f64 v[0:1], v[237:238], s[8:9], -v[24:25]
	v_fma_f64 v[12:13], v[218:219], s[16:17], -v[34:35]
	s_mov_b32 s40, 0xc61f0d01
	s_mov_b32 s39, 0x3feec746
	;; [unrolled: 1-line block ×3, first 2 shown]
	v_mul_f64 v[28:29], v[208:209], s[40:41]
	v_add_f64 v[212:213], v[178:179], -v[142:143]
	v_add_f64 v[2:3], v[14:15], v[2:3]
	v_mul_f64 v[14:15], v[226:227], s[30:31]
	v_fma_f64 v[6:7], v[241:242], s[26:27], v[6:7]
	v_fma_f64 v[8:9], v[237:238], s[10:11], -v[8:9]
	v_add_f64 v[0:1], v[116:117], v[0:1]
	v_add_f64 v[210:211], v[178:179], v[142:143]
	s_mov_b32 s52, 0x4363dd80
	s_mov_b32 s49, 0xbfeec746
	;; [unrolled: 1-line block ×4, first 2 shown]
	v_add_f64 v[6:7], v[118:119], v[6:7]
	v_add_f64 v[8:9], v[116:117], v[8:9]
	v_fma_f64 v[10:11], v[241:242], s[24:25], v[10:11]
	v_fma_f64 v[18:19], v[220:221], s[30:31], v[18:19]
	v_fma_f64 v[20:21], v[218:219], s[18:19], -v[20:21]
	v_add_f64 v[0:1], v[12:13], v[0:1]
	v_fma_f64 v[12:13], v[239:240], s[10:11], -v[40:41]
	v_add_f64 v[200:201], v[176:177], v[140:141]
	v_add_f64 v[202:203], v[176:177], -v[140:141]
	s_mov_b32 s44, 0x910ea3b9
	v_add_f64 v[10:11], v[118:119], v[10:11]
	v_add_f64 v[6:7], v[18:19], v[6:7]
	;; [unrolled: 1-line block ×3, first 2 shown]
	v_mul_f64 v[18:19], v[204:205], s[18:19]
	v_mul_f64 v[20:21], v[234:235], s[50:51]
	buffer_store_dword v18, off, s[64:67], 0 offset:316 ; 4-byte Folded Spill
	s_nop 0
	buffer_store_dword v19, off, s[64:67], 0 offset:320 ; 4-byte Folded Spill
	buffer_store_dword v20, off, s[64:67], 0 offset:340 ; 4-byte Folded Spill
	s_nop 0
	buffer_store_dword v21, off, s[64:67], 0 offset:344 ; 4-byte Folded Spill
	v_add_f64 v[0:1], v[12:13], v[0:1]
	s_mov_b32 s45, 0xbfeb34fa
	s_mov_b32 s59, 0x3fe58eea
	;; [unrolled: 1-line block ×3, first 2 shown]
	v_fma_f64 v[22:23], v[220:221], s[28:29], v[22:23]
	v_add_f64 v[114:115], v[130:131], -v[138:139]
	v_add_f64 v[112:113], v[130:131], v[138:139]
	v_add_f64 v[253:254], v[128:129], v[136:137]
	s_mov_b32 s55, 0xbfe0d888
	s_mov_b32 s54, s52
	v_add_f64 v[216:217], v[128:129], -v[136:137]
	v_add_f64 v[214:215], v[126:127], v[134:135]
	v_add_f64 v[10:11], v[22:23], v[10:11]
	v_mul_f64 v[22:23], v[204:205], s[36:37]
	buffer_store_dword v22, off, s[64:67], 0 offset:460 ; 4-byte Folded Spill
	s_nop 0
	buffer_store_dword v23, off, s[64:67], 0 offset:464 ; 4-byte Folded Spill
	v_fma_f64 v[16:17], v[239:240], s[18:19], -v[16:17]
	buffer_store_dword v14, off, s[64:67], 0 offset:244 ; 4-byte Folded Spill
	s_nop 0
	buffer_store_dword v15, off, s[64:67], 0 offset:248 ; 4-byte Folded Spill
	v_mul_f64 v[30:31], v[112:113], s[40:41]
	v_mul_f64 v[182:183], v[112:113], s[8:9]
	v_add_f64 v[228:229], v[124:125], v[132:133]
	s_mov_b32 s57, 0x3feca52d
	s_mov_b32 s56, s24
	v_add_f64 v[206:207], v[124:125], -v[132:133]
	v_add_f64 v[4:5], v[16:17], v[4:5]
	v_mul_f64 v[16:17], v[208:209], s[20:21]
	buffer_store_dword v16, off, s[64:67], 0 offset:252 ; 4-byte Folded Spill
	s_nop 0
	buffer_store_dword v17, off, s[64:67], 0 offset:256 ; 4-byte Folded Spill
	s_mov_b32 s43, 0x3fd71e95
	s_mov_b32 s42, s22
	v_add_f64 v[243:244], v[120:121], -v[144:145]
	v_mul_f64 v[180:181], v[249:250], s[30:31]
	v_mul_f64 v[44:45], v[214:215], s[20:21]
	v_add_f64 v[230:231], v[120:121], v[144:145]
	v_mul_f64 v[46:47], v[208:209], s[8:9]
	s_mov_b32 s61, 0x3fe9895b
	s_mov_b32 s60, s28
	v_fma_f64 v[18:19], v[245:246], s[28:29], v[18:19]
	v_fma_f64 v[20:21], v[239:240], s[36:37], -v[20:21]
	v_add_f64 v[6:7], v[18:19], v[6:7]
	v_add_f64 v[8:9], v[20:21], v[8:9]
	v_mul_f64 v[18:19], v[226:227], s[34:35]
	v_mul_f64 v[20:21], v[208:209], s[36:37]
	buffer_store_dword v18, off, s[64:67], 0 offset:260 ; 4-byte Folded Spill
	s_nop 0
	buffer_store_dword v19, off, s[64:67], 0 offset:264 ; 4-byte Folded Spill
	buffer_store_dword v20, off, s[64:67], 0 offset:364 ; 4-byte Folded Spill
	s_nop 0
	buffer_store_dword v21, off, s[64:67], 0 offset:368 ; 4-byte Folded Spill
	v_fma_f64 v[12:13], v[245:246], s[50:51], v[22:23]
	v_mul_f64 v[22:23], v[226:227], s[38:39]
	buffer_store_dword v22, off, s[64:67], 0 offset:452 ; 4-byte Folded Spill
	s_nop 0
	buffer_store_dword v23, off, s[64:67], 0 offset:456 ; 4-byte Folded Spill
	v_add_f64 v[10:11], v[12:13], v[10:11]
	v_fma_f64 v[12:13], v[222:223], s[20:21], -v[14:15]
	buffer_store_dword v28, off, s[64:67], 0 offset:508 ; 4-byte Folded Spill
	s_nop 0
	buffer_store_dword v29, off, s[64:67], 0 offset:512 ; 4-byte Folded Spill
	v_fma_f64 v[14:15], v[224:225], s[30:31], v[16:17]
	v_add_f64 v[0:1], v[12:13], v[0:1]
	v_add_f64 v[2:3], v[14:15], v[2:3]
	v_mul_f64 v[14:15], v[212:213], s[48:49]
	buffer_store_dword v14, off, s[64:67], 0 offset:292 ; 4-byte Folded Spill
	s_nop 0
	buffer_store_dword v15, off, s[64:67], 0 offset:296 ; 4-byte Folded Spill
	v_fma_f64 v[16:17], v[222:223], s[36:37], -v[18:19]
	v_fma_f64 v[18:19], v[224:225], s[34:35], v[20:21]
	v_add_f64 v[4:5], v[16:17], v[4:5]
	v_add_f64 v[6:7], v[18:19], v[6:7]
	v_mul_f64 v[16:17], v[210:211], s[40:41]
	v_mul_f64 v[18:19], v[212:213], s[52:53]
	buffer_store_dword v16, off, s[64:67], 0 offset:300 ; 4-byte Folded Spill
	s_nop 0
	buffer_store_dword v17, off, s[64:67], 0 offset:304 ; 4-byte Folded Spill
	buffer_store_dword v18, off, s[64:67], 0 offset:308 ; 4-byte Folded Spill
	s_nop 0
	buffer_store_dword v19, off, s[64:67], 0 offset:312 ; 4-byte Folded Spill
	v_fma_f64 v[20:21], v[222:223], s[40:41], -v[22:23]
	v_fma_f64 v[12:13], v[224:225], s[38:39], v[28:29]
	v_mul_f64 v[22:23], v[210:211], s[16:17]
	v_mul_f64 v[28:29], v[114:115], s[22:23]
	v_add_f64 v[8:9], v[20:21], v[8:9]
	v_add_f64 v[10:11], v[12:13], v[10:11]
	v_mul_f64 v[20:21], v[210:211], s[44:45]
	buffer_store_dword v20, off, s[64:67], 0 offset:404 ; 4-byte Folded Spill
	s_nop 0
	buffer_store_dword v21, off, s[64:67], 0 offset:408 ; 4-byte Folded Spill
	v_fma_f64 v[12:13], v[200:201], s[40:41], -v[14:15]
	v_add_f64 v[12:13], v[12:13], v[0:1]
	v_fma_f64 v[14:15], v[202:203], s[48:49], v[16:17]
	v_fma_f64 v[16:17], v[200:201], s[44:45], -v[18:19]
	v_mul_f64 v[18:19], v[212:213], s[58:59]
	buffer_store_dword v18, off, s[64:67], 0 offset:436 ; 4-byte Folded Spill
	s_nop 0
	buffer_store_dword v19, off, s[64:67], 0 offset:440 ; 4-byte Folded Spill
	buffer_store_dword v22, off, s[64:67], 0 offset:524 ; 4-byte Folded Spill
	s_nop 0
	buffer_store_dword v23, off, s[64:67], 0 offset:528 ; 4-byte Folded Spill
	v_add_f64 v[2:3], v[14:15], v[2:3]
	v_add_f64 v[4:5], v[16:17], v[4:5]
	v_fma_f64 v[0:1], v[202:203], s[52:53], v[20:21]
	v_mul_f64 v[20:21], v[112:113], s[18:19]
	v_add_f64 v[6:7], v[0:1], v[6:7]
	v_add_f64 v[0:1], v[126:127], -v[134:135]
	v_fma_f64 v[14:15], v[200:201], s[16:17], -v[18:19]
	v_fma_f64 v[16:17], v[202:203], s[58:59], v[22:23]
	v_mul_f64 v[18:19], v[114:115], s[28:29]
	v_mul_f64 v[22:23], v[114:115], s[38:39]
	buffer_store_dword v18, off, s[64:67], 0 offset:332 ; 4-byte Folded Spill
	s_nop 0
	buffer_store_dword v19, off, s[64:67], 0 offset:336 ; 4-byte Folded Spill
	buffer_store_dword v20, off, s[64:67], 0 offset:348 ; 4-byte Folded Spill
	s_nop 0
	buffer_store_dword v21, off, s[64:67], 0 offset:352 ; 4-byte Folded Spill
	buffer_store_dword v22, off, s[64:67], 0 offset:356 ; 4-byte Folded Spill
	s_nop 0
	buffer_store_dword v23, off, s[64:67], 0 offset:360 ; 4-byte Folded Spill
	buffer_store_dword v30, off, s[64:67], 0 offset:444 ; 4-byte Folded Spill
	s_nop 0
	buffer_store_dword v31, off, s[64:67], 0 offset:448 ; 4-byte Folded Spill
	buffer_store_dword v28, off, s[64:67], 0 offset:428 ; 4-byte Folded Spill
	s_nop 0
	buffer_store_dword v29, off, s[64:67], 0 offset:432 ; 4-byte Folded Spill
	v_add_f64 v[8:9], v[14:15], v[8:9]
	buffer_store_dword v182, off, s[64:67], 0 offset:548 ; 4-byte Folded Spill
	s_nop 0
	buffer_store_dword v183, off, s[64:67], 0 offset:552 ; 4-byte Folded Spill
	v_add_f64 v[10:11], v[16:17], v[10:11]
	v_fma_f64 v[14:15], v[253:254], s[18:19], -v[18:19]
	v_fma_f64 v[16:17], v[216:217], s[28:29], v[20:21]
	v_fma_f64 v[18:19], v[253:254], s[40:41], -v[22:23]
	v_fma_f64 v[20:21], v[216:217], s[38:39], v[30:31]
	v_fma_f64 v[22:23], v[253:254], s[8:9], -v[28:29]
	v_mul_f64 v[28:29], v[0:1], s[54:55]
	buffer_store_dword v28, off, s[64:67], 0 offset:388 ; 4-byte Folded Spill
	s_nop 0
	buffer_store_dword v29, off, s[64:67], 0 offset:392 ; 4-byte Folded Spill
	v_mul_f64 v[30:31], v[214:215], s[44:45]
	buffer_store_dword v30, off, s[64:67], 0 offset:396 ; 4-byte Folded Spill
	s_nop 0
	buffer_store_dword v31, off, s[64:67], 0 offset:400 ; 4-byte Folded Spill
	v_add_f64 v[12:13], v[14:15], v[12:13]
	v_add_f64 v[2:3], v[16:17], v[2:3]
	;; [unrolled: 1-line block ×3, first 2 shown]
	v_mul_f64 v[20:21], v[0:1], s[56:57]
	buffer_store_dword v20, off, s[64:67], 0 offset:412 ; 4-byte Folded Spill
	s_nop 0
	buffer_store_dword v21, off, s[64:67], 0 offset:416 ; 4-byte Folded Spill
	v_add_f64 v[4:5], v[18:19], v[4:5]
	v_fma_f64 v[6:7], v[216:217], s[22:23], v[182:183]
	v_add_f64 v[8:9], v[22:23], v[8:9]
	v_mul_f64 v[22:23], v[0:1], s[30:31]
	v_add_f64 v[10:11], v[6:7], v[10:11]
	v_add_f64 v[6:7], v[122:123], -v[146:147]
	v_mul_f64 v[182:183], v[6:7], s[42:43]
	v_fma_f64 v[16:17], v[228:229], s[44:45], -v[28:29]
	v_mul_f64 v[28:29], v[214:215], s[10:11]
	buffer_store_dword v28, off, s[64:67], 0 offset:500 ; 4-byte Folded Spill
	s_nop 0
	buffer_store_dword v29, off, s[64:67], 0 offset:504 ; 4-byte Folded Spill
	v_fma_f64 v[18:19], v[206:207], s[54:55], v[30:31]
	v_add_f64 v[12:13], v[16:17], v[12:13]
	buffer_store_dword v22, off, s[64:67], 0 offset:492 ; 4-byte Folded Spill
	s_nop 0
	buffer_store_dword v23, off, s[64:67], 0 offset:496 ; 4-byte Folded Spill
	v_add_f64 v[16:17], v[18:19], v[2:3]
	v_add_f64 v[2:3], v[122:123], v[146:147]
	v_fma_f64 v[18:19], v[228:229], s[10:11], -v[20:21]
	v_mul_f64 v[30:31], v[2:3], s[36:37]
	v_mul_f64 v[188:189], v[2:3], s[8:9]
	;; [unrolled: 1-line block ×3, first 2 shown]
	v_add_f64 v[4:5], v[18:19], v[4:5]
	v_fma_f64 v[18:19], v[206:207], s[30:31], v[44:45]
	v_add_f64 v[10:11], v[18:19], v[10:11]
	v_fma_f64 v[20:21], v[206:207], s[56:57], v[28:29]
	v_mul_f64 v[28:29], v[6:7], s[34:35]
	buffer_store_dword v28, off, s[64:67], 0 offset:468 ; 4-byte Folded Spill
	s_nop 0
	buffer_store_dword v29, off, s[64:67], 0 offset:472 ; 4-byte Folded Spill
	buffer_store_dword v30, off, s[64:67], 0 offset:476 ; 4-byte Folded Spill
	s_nop 0
	buffer_store_dword v31, off, s[64:67], 0 offset:480 ; 4-byte Folded Spill
	buffer_store_dword v182, off, s[64:67], 0 offset:484 ; 4-byte Folded Spill
	s_nop 0
	buffer_store_dword v183, off, s[64:67], 0 offset:488 ; 4-byte Folded Spill
	buffer_store_dword v188, off, s[64:67], 0 offset:516 ; 4-byte Folded Spill
	s_nop 0
	buffer_store_dword v189, off, s[64:67], 0 offset:520 ; 4-byte Folded Spill
	v_fma_f64 v[22:23], v[228:229], s[20:21], -v[22:23]
	buffer_store_dword v180, off, s[64:67], 0 offset:420 ; 4-byte Folded Spill
	s_nop 0
	buffer_store_dword v181, off, s[64:67], 0 offset:424 ; 4-byte Folded Spill
	v_add_f64 v[14:15], v[20:21], v[14:15]
	v_add_f64 v[8:9], v[22:23], v[8:9]
	v_fma_f64 v[20:21], v[230:231], s[36:37], -v[28:29]
	v_fma_f64 v[22:23], v[243:244], s[34:35], v[30:31]
	v_fma_f64 v[28:29], v[230:231], s[8:9], -v[182:183]
	v_fma_f64 v[30:31], v[243:244], s[42:43], v[188:189]
	v_mul_f64 v[188:189], v[6:7], s[54:55]
	buffer_store_dword v188, off, s[64:67], 0 offset:532 ; 4-byte Folded Spill
	s_nop 0
	buffer_store_dword v189, off, s[64:67], 0 offset:536 ; 4-byte Folded Spill
	buffer_store_dword v190, off, s[64:67], 0 offset:540 ; 4-byte Folded Spill
	s_nop 0
	buffer_store_dword v191, off, s[64:67], 0 offset:544 ; 4-byte Folded Spill
	v_fma_f64 v[18:19], v[237:238], s[20:21], -v[180:181]
	v_add_f64 v[192:193], v[20:21], v[12:13]
	v_add_f64 v[180:181], v[28:29], v[4:5]
	v_mul_f64 v[20:21], v[232:233], s[20:21]
	v_add_f64 v[182:183], v[30:31], v[14:15]
	v_mul_f64 v[14:15], v[247:248], s[34:35]
	v_mul_f64 v[30:31], v[251:252], s[36:37]
	v_add_f64 v[194:195], v[22:23], v[16:17]
	v_add_f64 v[16:17], v[116:117], v[18:19]
	v_mul_f64 v[22:23], v[234:235], s[38:39]
	v_mul_f64 v[18:19], v[226:227], s[42:43]
	;; [unrolled: 1-line block ×3, first 2 shown]
	v_fma_f64 v[4:5], v[230:231], s[44:45], -v[188:189]
	v_fma_f64 v[12:13], v[243:244], s[54:55], v[190:191]
	v_add_f64 v[188:189], v[4:5], v[8:9]
	v_fma_f64 v[8:9], v[241:242], s[30:31], v[20:21]
	v_add_f64 v[190:191], v[12:13], v[10:11]
	v_fma_f64 v[4:5], v[218:219], s[36:37], -v[14:15]
	v_fma_f64 v[10:11], v[220:221], s[34:35], v[30:31]
	v_mul_f64 v[12:13], v[0:1], s[60:61]
	v_add_f64 v[8:9], v[118:119], v[8:9]
	v_add_f64 v[4:5], v[4:5], v[16:17]
	v_mul_f64 v[16:17], v[114:115], s[54:55]
	v_fma_f64 v[196:197], v[228:229], s[18:19], -v[12:13]
	v_add_f64 v[8:9], v[10:11], v[8:9]
	v_fma_f64 v[10:11], v[239:240], s[40:41], -v[22:23]
	v_add_f64 v[4:5], v[10:11], v[4:5]
	v_mul_f64 v[10:11], v[204:205], s[40:41]
	buffer_store_dword v10, off, s[64:67], 0 offset:556 ; 4-byte Folded Spill
	s_nop 0
	buffer_store_dword v11, off, s[64:67], 0 offset:560 ; 4-byte Folded Spill
	v_fma_f64 v[10:11], v[245:246], s[38:39], v[10:11]
	v_add_f64 v[8:9], v[10:11], v[8:9]
	v_fma_f64 v[10:11], v[222:223], s[8:9], -v[18:19]
	v_add_f64 v[4:5], v[10:11], v[4:5]
	v_fma_f64 v[10:11], v[224:225], s[42:43], v[46:47]
	v_add_f64 v[8:9], v[10:11], v[8:9]
	v_fma_f64 v[10:11], v[200:201], s[10:11], -v[28:29]
	v_add_f64 v[4:5], v[10:11], v[4:5]
	v_mul_f64 v[10:11], v[210:211], s[10:11]
	buffer_store_dword v10, off, s[64:67], 0 offset:564 ; 4-byte Folded Spill
	s_nop 0
	buffer_store_dword v11, off, s[64:67], 0 offset:568 ; 4-byte Folded Spill
	v_fma_f64 v[10:11], v[202:203], s[24:25], v[10:11]
	v_add_f64 v[8:9], v[10:11], v[8:9]
	v_fma_f64 v[10:11], v[253:254], s[44:45], -v[16:17]
	v_add_f64 v[4:5], v[10:11], v[4:5]
	v_mul_f64 v[10:11], v[112:113], s[44:45]
	buffer_store_dword v10, off, s[64:67], 0 offset:572 ; 4-byte Folded Spill
	s_nop 0
	buffer_store_dword v11, off, s[64:67], 0 offset:576 ; 4-byte Folded Spill
	v_add_f64 v[196:197], v[196:197], v[4:5]
	v_mul_f64 v[4:5], v[214:215], s[18:19]
	buffer_store_dword v4, off, s[64:67], 0 offset:580 ; 4-byte Folded Spill
	s_nop 0
	buffer_store_dword v5, off, s[64:67], 0 offset:584 ; 4-byte Folded Spill
	s_waitcnt vmcnt(0)
	s_barrier
	v_fma_f64 v[10:11], v[216:217], s[54:55], v[10:11]
	v_add_f64 v[8:9], v[10:11], v[8:9]
	v_fma_f64 v[198:199], v[206:207], s[60:61], v[4:5]
	v_mul_f64 v[4:5], v[6:7], s[58:59]
	v_add_f64 v[198:199], v[198:199], v[8:9]
	v_fma_f64 v[8:9], v[230:231], s[16:17], -v[4:5]
	v_add_f64 v[196:197], v[8:9], v[196:197]
	v_mul_f64 v[8:9], v[2:3], s[16:17]
	v_fma_f64 v[10:11], v[243:244], s[58:59], v[8:9]
	v_add_f64 v[198:199], v[10:11], v[198:199]
	s_and_saveexec_b64 s[46:47], s[0:1]
	s_cbranch_execz .LBB0_17
; %bb.16:
	v_mul_f64 v[10:11], v[241:242], s[34:35]
	buffer_store_dword v12, off, s[64:67], 0 offset:692 ; 4-byte Folded Spill
	s_nop 0
	buffer_store_dword v13, off, s[64:67], 0 offset:696 ; 4-byte Folded Spill
	buffer_store_dword v14, off, s[64:67], 0 offset:724 ; 4-byte Folded Spill
	s_nop 0
	buffer_store_dword v15, off, s[64:67], 0 offset:728 ; 4-byte Folded Spill
	v_mul_f64 v[14:15], v[220:221], s[42:43]
	buffer_store_dword v16, off, s[64:67], 0 offset:708 ; 4-byte Folded Spill
	s_nop 0
	buffer_store_dword v17, off, s[64:67], 0 offset:712 ; 4-byte Folded Spill
	buffer_store_dword v18, off, s[64:67], 0 offset:740 ; 4-byte Folded Spill
	s_nop 0
	buffer_store_dword v19, off, s[64:67], 0 offset:744 ; 4-byte Folded Spill
	buffer_store_dword v20, off, s[64:67], 0 offset:764 ; 4-byte Folded Spill
	s_nop 0
	buffer_store_dword v21, off, s[64:67], 0 offset:768 ; 4-byte Folded Spill
	v_mul_f64 v[20:21], v[247:248], s[42:43]
	v_fma_f64 v[12:13], v[232:233], s[36:37], v[10:11]
	buffer_store_dword v22, off, s[64:67], 0 offset:756 ; 4-byte Folded Spill
	s_nop 0
	buffer_store_dword v23, off, s[64:67], 0 offset:760 ; 4-byte Folded Spill
	buffer_store_dword v28, off, s[64:67], 0 offset:748 ; 4-byte Folded Spill
	s_nop 0
	buffer_store_dword v29, off, s[64:67], 0 offset:752 ; 4-byte Folded Spill
	v_fma_f64 v[16:17], v[251:252], s[8:9], v[14:15]
	buffer_store_dword v30, off, s[64:67], 0 offset:780 ; 4-byte Folded Spill
	s_nop 0
	buffer_store_dword v31, off, s[64:67], 0 offset:784 ; 4-byte Folded Spill
	buffer_store_dword v40, off, s[64:67], 0 offset:604 ; 4-byte Folded Spill
	s_nop 0
	buffer_store_dword v41, off, s[64:67], 0 offset:608 ; 4-byte Folded Spill
	;; [unrolled: 3-line block ×3, first 2 shown]
	v_fma_f64 v[22:23], v[218:219], s[8:9], -v[20:21]
	v_add_f64 v[12:13], v[118:119], v[12:13]
	buffer_store_dword v4, off, s[64:67], 0 offset:716 ; 4-byte Folded Spill
	s_nop 0
	buffer_store_dword v5, off, s[64:67], 0 offset:720 ; 4-byte Folded Spill
	buffer_store_dword v8, off, s[64:67], 0 offset:772 ; 4-byte Folded Spill
	s_nop 0
	buffer_store_dword v9, off, s[64:67], 0 offset:776 ; 4-byte Folded Spill
	;; [unrolled: 3-line block ×6, first 2 shown]
	s_mov_b32 s63, 0x3fefdd0d
	v_add_f64 v[12:13], v[16:17], v[12:13]
	v_mul_f64 v[16:17], v[249:250], s[34:35]
	s_mov_b32 s62, s30
	buffer_store_dword v36, off, s[64:67], 0 offset:652 ; 4-byte Folded Spill
	s_nop 0
	buffer_store_dword v37, off, s[64:67], 0 offset:656 ; 4-byte Folded Spill
	buffer_store_dword v46, off, s[64:67], 0 offset:788 ; 4-byte Folded Spill
	s_nop 0
	buffer_store_dword v47, off, s[64:67], 0 offset:792 ; 4-byte Folded Spill
	;; [unrolled: 3-line block ×3, first 2 shown]
	v_fma_f64 v[18:19], v[237:238], s[36:37], -v[16:17]
	v_add_f64 v[18:19], v[116:117], v[18:19]
	v_add_f64 v[18:19], v[22:23], v[18:19]
	v_mul_f64 v[22:23], v[245:246], s[54:55]
	v_fma_f64 v[28:29], v[204:205], s[44:45], v[22:23]
	v_add_f64 v[12:13], v[28:29], v[12:13]
	v_mul_f64 v[28:29], v[234:235], s[54:55]
	v_fma_f64 v[30:31], v[239:240], s[44:45], -v[28:29]
	v_add_f64 v[18:19], v[30:31], v[18:19]
	v_mul_f64 v[30:31], v[224:225], s[58:59]
	v_fma_f64 v[40:41], v[208:209], s[16:17], v[30:31]
	v_add_f64 v[12:13], v[40:41], v[12:13]
	v_mul_f64 v[40:41], v[226:227], s[58:59]
	v_fma_f64 v[42:43], v[222:223], s[16:17], -v[40:41]
	;; [unrolled: 6-line block ×3, first 2 shown]
	v_fma_f64 v[12:13], v[200:201], s[18:19], v[12:13]
	v_add_f64 v[8:9], v[8:9], v[18:19]
	v_mul_f64 v[18:19], v[216:217], s[56:57]
	v_fma_f64 v[24:25], v[112:113], s[10:11], v[18:19]
	v_add_f64 v[4:5], v[24:25], v[4:5]
	v_mul_f64 v[24:25], v[114:115], s[56:57]
	v_fma_f64 v[26:27], v[253:254], s[10:11], -v[24:25]
	v_add_f64 v[8:9], v[26:27], v[8:9]
	v_mul_f64 v[26:27], v[206:207], s[48:49]
	v_fma_f64 v[32:33], v[214:215], s[40:41], v[26:27]
	v_add_f64 v[4:5], v[32:33], v[4:5]
	v_mul_f64 v[32:33], v[0:1], s[48:49]
	v_fma_f64 v[34:35], v[228:229], s[40:41], -v[32:33]
	;; [unrolled: 6-line block ×3, first 2 shown]
	v_fma_f64 v[4:5], v[230:231], s[20:21], v[4:5]
	v_add_f64 v[44:45], v[36:37], v[8:9]
	v_fma_f64 v[8:9], v[232:233], s[36:37], -v[10:11]
	v_fma_f64 v[10:11], v[251:252], s[8:9], -v[14:15]
	v_fma_f64 v[14:15], v[218:219], s[8:9], v[20:21]
	buffer_store_dword v44, off, s[64:67], 0 offset:588 ; 4-byte Folded Spill
	s_nop 0
	buffer_store_dword v45, off, s[64:67], 0 offset:592 ; 4-byte Folded Spill
	buffer_store_dword v46, off, s[64:67], 0 offset:596 ; 4-byte Folded Spill
	buffer_store_dword v47, off, s[64:67], 0 offset:600 ; 4-byte Folded Spill
	v_add_f64 v[8:9], v[118:119], v[8:9]
	v_add_f64 v[8:9], v[10:11], v[8:9]
	v_fma_f64 v[10:11], v[237:238], s[36:37], v[16:17]
	v_add_f64 v[10:11], v[116:117], v[10:11]
	v_add_f64 v[10:11], v[14:15], v[10:11]
	v_fma_f64 v[14:15], v[204:205], s[44:45], -v[22:23]
	v_add_f64 v[8:9], v[14:15], v[8:9]
	v_fma_f64 v[14:15], v[239:240], s[44:45], v[28:29]
	v_add_f64 v[10:11], v[14:15], v[10:11]
	v_fma_f64 v[14:15], v[208:209], s[16:17], -v[30:31]
	v_add_f64 v[8:9], v[14:15], v[8:9]
	v_fma_f64 v[14:15], v[222:223], s[16:17], v[40:41]
	v_add_f64 v[10:11], v[14:15], v[10:11]
	v_fma_f64 v[14:15], v[210:211], s[18:19], -v[42:43]
	v_add_f64 v[10:11], v[12:13], v[10:11]
	v_add_f64 v[8:9], v[14:15], v[8:9]
	v_fma_f64 v[14:15], v[112:113], s[10:11], -v[18:19]
	v_fma_f64 v[12:13], v[253:254], s[10:11], v[24:25]
	v_add_f64 v[8:9], v[14:15], v[8:9]
	v_fma_f64 v[14:15], v[214:215], s[40:41], -v[26:27]
	v_add_f64 v[10:11], v[12:13], v[10:11]
	v_fma_f64 v[12:13], v[228:229], s[40:41], v[32:33]
	v_mul_f64 v[26:27], v[247:248], s[56:57]
	v_add_f64 v[8:9], v[14:15], v[8:9]
	v_add_f64 v[10:11], v[12:13], v[10:11]
	v_fma_f64 v[12:13], v[2:3], s[20:21], -v[34:35]
	v_fma_f64 v[28:29], v[218:219], s[10:11], -v[26:27]
	v_add_f64 v[10:11], v[4:5], v[10:11]
	v_add_f64 v[12:13], v[12:13], v[8:9]
	v_mul_f64 v[4:5], v[241:242], s[54:55]
	buffer_store_dword v10, off, s[64:67], 0 offset:660 ; 4-byte Folded Spill
	s_nop 0
	buffer_store_dword v11, off, s[64:67], 0 offset:664 ; 4-byte Folded Spill
	buffer_store_dword v12, off, s[64:67], 0 offset:668 ; 4-byte Folded Spill
	;; [unrolled: 1-line block ×3, first 2 shown]
	v_fma_f64 v[8:9], v[232:233], s[44:45], v[4:5]
	v_mul_f64 v[10:11], v[220:221], s[56:57]
	v_fma_f64 v[4:5], v[232:233], s[44:45], -v[4:5]
	buffer_store_dword v38, off, s[64:67], 0 offset:700 ; 4-byte Folded Spill
	s_nop 0
	buffer_store_dword v39, off, s[64:67], 0 offset:704 ; 4-byte Folded Spill
	v_add_f64 v[8:9], v[118:119], v[8:9]
	v_fma_f64 v[12:13], v[251:252], s[10:11], v[10:11]
	v_fma_f64 v[10:11], v[251:252], s[10:11], -v[10:11]
	v_add_f64 v[4:5], v[118:119], v[4:5]
	v_add_f64 v[8:9], v[12:13], v[8:9]
	v_mul_f64 v[12:13], v[245:246], s[30:31]
	v_add_f64 v[4:5], v[10:11], v[4:5]
	v_fma_f64 v[14:15], v[204:205], s[20:21], v[12:13]
	v_fma_f64 v[10:11], v[204:205], s[20:21], -v[12:13]
	v_fma_f64 v[12:13], v[218:219], s[10:11], v[26:27]
	v_add_f64 v[8:9], v[14:15], v[8:9]
	v_mul_f64 v[14:15], v[224:225], s[60:61]
	v_add_f64 v[4:5], v[10:11], v[4:5]
	v_fma_f64 v[16:17], v[208:209], s[18:19], v[14:15]
	v_fma_f64 v[10:11], v[208:209], s[18:19], -v[14:15]
	v_mul_f64 v[14:15], v[220:221], s[38:39]
	v_add_f64 v[8:9], v[16:17], v[8:9]
	v_mul_f64 v[16:17], v[202:203], s[22:23]
	v_add_f64 v[4:5], v[10:11], v[4:5]
	v_fma_f64 v[18:19], v[210:211], s[8:9], v[16:17]
	v_fma_f64 v[10:11], v[210:211], s[8:9], -v[16:17]
	v_fma_f64 v[16:17], v[251:252], s[40:41], v[14:15]
	v_fma_f64 v[14:15], v[251:252], s[40:41], -v[14:15]
	v_add_f64 v[8:9], v[18:19], v[8:9]
	v_mul_f64 v[18:19], v[216:217], s[34:35]
	v_add_f64 v[4:5], v[10:11], v[4:5]
	v_fma_f64 v[20:21], v[112:113], s[36:37], v[18:19]
	v_fma_f64 v[10:11], v[112:113], s[36:37], -v[18:19]
	v_add_f64 v[8:9], v[20:21], v[8:9]
	v_mul_f64 v[20:21], v[206:207], s[58:59]
	v_add_f64 v[4:5], v[10:11], v[4:5]
	;; [unrolled: 5-line block ×3, first 2 shown]
	v_fma_f64 v[24:25], v[237:238], s[44:45], -v[22:23]
	v_fma_f64 v[10:11], v[237:238], s[44:45], v[22:23]
	v_add_f64 v[24:25], v[116:117], v[24:25]
	v_add_f64 v[10:11], v[116:117], v[10:11]
	;; [unrolled: 1-line block ×3, first 2 shown]
	v_mul_f64 v[28:29], v[234:235], s[30:31]
	v_add_f64 v[10:11], v[12:13], v[10:11]
	v_fma_f64 v[30:31], v[239:240], s[20:21], -v[28:29]
	v_fma_f64 v[12:13], v[239:240], s[20:21], v[28:29]
	v_add_f64 v[24:25], v[30:31], v[24:25]
	v_mul_f64 v[30:31], v[226:227], s[60:61]
	v_add_f64 v[10:11], v[12:13], v[10:11]
	v_fma_f64 v[32:33], v[222:223], s[18:19], -v[30:31]
	v_fma_f64 v[12:13], v[222:223], s[18:19], v[30:31]
	v_mul_f64 v[30:31], v[247:248], s[38:39]
	v_add_f64 v[24:25], v[32:33], v[24:25]
	v_mul_f64 v[32:33], v[212:213], s[22:23]
	v_add_f64 v[10:11], v[12:13], v[10:11]
	v_fma_f64 v[34:35], v[200:201], s[8:9], -v[32:33]
	v_fma_f64 v[12:13], v[200:201], s[8:9], v[32:33]
	v_fma_f64 v[32:33], v[218:219], s[40:41], -v[30:31]
	v_add_f64 v[24:25], v[34:35], v[24:25]
	v_mul_f64 v[34:35], v[114:115], s[34:35]
	v_add_f64 v[10:11], v[12:13], v[10:11]
	v_fma_f64 v[36:37], v[253:254], s[36:37], -v[34:35]
	v_fma_f64 v[12:13], v[253:254], s[36:37], v[34:35]
	v_add_f64 v[24:25], v[36:37], v[24:25]
	v_mul_f64 v[36:37], v[0:1], s[58:59]
	v_add_f64 v[10:11], v[12:13], v[10:11]
	v_fma_f64 v[38:39], v[228:229], s[16:17], -v[36:37]
	v_fma_f64 v[12:13], v[228:229], s[16:17], v[36:37]
	v_add_f64 v[24:25], v[38:39], v[24:25]
	v_mul_f64 v[38:39], v[243:244], s[48:49]
	v_add_f64 v[10:11], v[12:13], v[10:11]
	v_fma_f64 v[40:41], v[2:3], s[40:41], v[38:39]
	v_fma_f64 v[12:13], v[2:3], s[40:41], -v[38:39]
	v_add_f64 v[42:43], v[40:41], v[8:9]
	v_mul_f64 v[8:9], v[6:7], s[48:49]
	v_add_f64 v[46:47], v[12:13], v[4:5]
	v_add_f64 v[4:5], v[118:119], v[166:167]
	v_fma_f64 v[40:41], v[230:231], s[40:41], -v[8:9]
	v_fma_f64 v[8:9], v[230:231], s[40:41], v[8:9]
	v_add_f64 v[4:5], v[4:5], v[170:171]
	v_add_f64 v[40:41], v[40:41], v[24:25]
	v_add_f64 v[44:45], v[8:9], v[10:11]
	v_mul_f64 v[10:11], v[241:242], s[28:29]
	buffer_store_dword v40, off, s[64:67], 0 offset:676 ; 4-byte Folded Spill
	s_nop 0
	buffer_store_dword v41, off, s[64:67], 0 offset:680 ; 4-byte Folded Spill
	buffer_store_dword v42, off, s[64:67], 0 offset:684 ; 4-byte Folded Spill
	;; [unrolled: 1-line block ×3, first 2 shown]
	v_add_f64 v[8:9], v[116:117], v[164:165]
	v_fma_f64 v[12:13], v[232:233], s[18:19], v[10:11]
	v_fma_f64 v[10:11], v[232:233], s[18:19], -v[10:11]
	v_add_f64 v[4:5], v[4:5], v[174:175]
	v_add_f64 v[8:9], v[8:9], v[168:169]
	;; [unrolled: 1-line block ×5, first 2 shown]
	v_mul_f64 v[186:187], v[245:246], s[28:29]
	v_add_f64 v[8:9], v[8:9], v[172:173]
	v_add_f64 v[12:13], v[16:17], v[12:13]
	v_mul_f64 v[16:17], v[245:246], s[22:23]
	v_add_f64 v[10:11], v[14:15], v[10:11]
	v_add_f64 v[4:5], v[4:5], v[178:179]
	;; [unrolled: 1-line block ×3, first 2 shown]
	v_fma_f64 v[18:19], v[204:205], s[8:9], v[16:17]
	v_fma_f64 v[14:15], v[204:205], s[8:9], -v[16:17]
	v_fma_f64 v[16:17], v[218:219], s[40:41], v[30:31]
	v_add_f64 v[4:5], v[4:5], v[130:131]
	v_add_f64 v[8:9], v[8:9], v[176:177]
	v_mul_f64 v[176:177], v[218:219], s[18:19]
	v_add_f64 v[12:13], v[18:19], v[12:13]
	v_mul_f64 v[18:19], v[224:225], s[54:55]
	v_add_f64 v[10:11], v[14:15], v[10:11]
	v_add_f64 v[4:5], v[4:5], v[126:127]
	v_add_f64 v[8:9], v[8:9], v[128:129]
	v_fma_f64 v[20:21], v[208:209], s[44:45], v[18:19]
	v_fma_f64 v[14:15], v[208:209], s[44:45], -v[18:19]
	v_add_f64 v[4:5], v[4:5], v[122:123]
	v_add_f64 v[8:9], v[8:9], v[124:125]
	v_add_f64 v[12:13], v[20:21], v[12:13]
	v_mul_f64 v[20:21], v[202:203], s[62:63]
	v_add_f64 v[10:11], v[14:15], v[10:11]
	v_add_f64 v[4:5], v[4:5], v[146:147]
	v_add_f64 v[8:9], v[8:9], v[120:121]
	v_fma_f64 v[22:23], v[210:211], s[20:21], v[20:21]
	v_fma_f64 v[14:15], v[210:211], s[20:21], -v[20:21]
	v_add_f64 v[4:5], v[4:5], v[134:135]
	v_add_f64 v[8:9], v[8:9], v[144:145]
	;; [unrolled: 9-line block ×4, first 2 shown]
	v_add_f64 v[12:13], v[26:27], v[12:13]
	v_mul_f64 v[26:27], v[249:250], s[28:29]
	v_add_f64 v[10:11], v[14:15], v[10:11]
	v_add_f64 v[4:5], v[4:5], v[154:155]
	;; [unrolled: 1-line block ×3, first 2 shown]
	v_fma_f64 v[28:29], v[237:238], s[18:19], -v[26:27]
	v_fma_f64 v[14:15], v[237:238], s[18:19], v[26:27]
	v_add_f64 v[8:9], v[8:9], v[152:153]
	v_add_f64 v[28:29], v[116:117], v[28:29]
	;; [unrolled: 1-line block ×4, first 2 shown]
	v_mul_f64 v[32:33], v[234:235], s[22:23]
	v_add_f64 v[14:15], v[16:17], v[14:15]
	v_fma_f64 v[34:35], v[239:240], s[8:9], -v[32:33]
	v_fma_f64 v[16:17], v[239:240], s[8:9], v[32:33]
	v_add_f64 v[28:29], v[34:35], v[28:29]
	v_mul_f64 v[34:35], v[226:227], s[54:55]
	v_add_f64 v[14:15], v[16:17], v[14:15]
	v_fma_f64 v[36:37], v[222:223], s[44:45], -v[34:35]
	v_fma_f64 v[16:17], v[222:223], s[44:45], v[34:35]
	v_add_f64 v[28:29], v[36:37], v[28:29]
	;; [unrolled: 5-line block ×4, first 2 shown]
	v_mul_f64 v[40:41], v[0:1], s[34:35]
	v_add_f64 v[14:15], v[16:17], v[14:15]
	v_mul_f64 v[0:1], v[0:1], s[22:23]
	v_fma_f64 v[42:43], v[228:229], s[36:37], -v[40:41]
	v_fma_f64 v[16:17], v[228:229], s[36:37], v[40:41]
	v_add_f64 v[28:29], v[42:43], v[28:29]
	v_mul_f64 v[42:43], v[243:244], s[56:57]
	v_add_f64 v[14:15], v[16:17], v[14:15]
	v_fma_f64 v[164:165], v[2:3], s[10:11], v[42:43]
	v_fma_f64 v[16:17], v[2:3], s[10:11], -v[42:43]
	v_add_f64 v[166:167], v[164:165], v[12:13]
	v_mul_f64 v[12:13], v[6:7], s[56:57]
	v_add_f64 v[170:171], v[16:17], v[10:11]
	v_mul_f64 v[10:11], v[241:242], s[48:49]
	v_mul_f64 v[6:7], v[6:7], s[28:29]
	v_fma_f64 v[164:165], v[230:231], s[10:11], -v[12:13]
	v_fma_f64 v[12:13], v[230:231], s[10:11], v[12:13]
	v_add_f64 v[164:165], v[164:165], v[28:29]
	v_add_f64 v[168:169], v[12:13], v[14:15]
	v_fma_f64 v[12:13], v[232:233], s[40:41], v[10:11]
	v_mul_f64 v[14:15], v[220:221], s[52:53]
	v_mul_f64 v[28:29], v[247:248], s[52:53]
	v_fma_f64 v[10:11], v[232:233], s[40:41], -v[10:11]
	v_add_f64 v[12:13], v[118:119], v[12:13]
	v_fma_f64 v[16:17], v[251:252], s[44:45], v[14:15]
	v_fma_f64 v[32:33], v[218:219], s[44:45], -v[28:29]
	v_fma_f64 v[14:15], v[251:252], s[44:45], -v[14:15]
	v_add_f64 v[10:11], v[118:119], v[10:11]
	v_add_f64 v[12:13], v[16:17], v[12:13]
	v_mul_f64 v[16:17], v[245:246], s[58:59]
	v_add_f64 v[10:11], v[14:15], v[10:11]
	v_fma_f64 v[18:19], v[204:205], s[16:17], v[16:17]
	v_add_f64 v[12:13], v[18:19], v[12:13]
	v_mul_f64 v[18:19], v[224:225], s[24:25]
	v_fma_f64 v[20:21], v[208:209], s[10:11], v[18:19]
	v_fma_f64 v[14:15], v[208:209], s[10:11], -v[18:19]
	v_add_f64 v[12:13], v[20:21], v[12:13]
	v_mul_f64 v[20:21], v[202:203], s[34:35]
	v_fma_f64 v[22:23], v[210:211], s[36:37], v[20:21]
	v_add_f64 v[12:13], v[22:23], v[12:13]
	v_mul_f64 v[22:23], v[216:217], s[62:63]
	v_fma_f64 v[24:25], v[112:113], s[20:21], v[22:23]
	;; [unrolled: 3-line block ×3, first 2 shown]
	v_add_f64 v[12:13], v[26:27], v[12:13]
	v_mul_f64 v[26:27], v[249:250], s[48:49]
	v_fma_f64 v[30:31], v[237:238], s[40:41], -v[26:27]
	v_add_f64 v[30:31], v[116:117], v[30:31]
	v_add_f64 v[30:31], v[32:33], v[30:31]
	v_mul_f64 v[32:33], v[234:235], s[58:59]
	v_fma_f64 v[34:35], v[239:240], s[16:17], -v[32:33]
	v_add_f64 v[30:31], v[34:35], v[30:31]
	v_mul_f64 v[34:35], v[226:227], s[24:25]
	v_mul_f64 v[226:227], v[253:254], s[8:9]
	v_fma_f64 v[36:37], v[222:223], s[10:11], -v[34:35]
	v_add_f64 v[30:31], v[36:37], v[30:31]
	v_mul_f64 v[36:37], v[212:213], s[34:35]
	;; [unrolled: 4-line block ×3, first 2 shown]
	v_mul_f64 v[114:115], v[220:221], s[30:31]
	v_fma_f64 v[40:41], v[253:254], s[20:21], -v[38:39]
	v_add_f64 v[30:31], v[40:41], v[30:31]
	v_fma_f64 v[40:41], v[228:229], s[8:9], -v[0:1]
	v_fma_f64 v[0:1], v[228:229], s[8:9], v[0:1]
	v_add_f64 v[30:31], v[40:41], v[30:31]
	v_mul_f64 v[40:41], v[243:244], s[28:29]
	v_fma_f64 v[42:43], v[2:3], s[18:19], v[40:41]
	v_fma_f64 v[2:3], v[2:3], s[18:19], -v[40:41]
	v_add_f64 v[174:175], v[42:43], v[12:13]
	v_fma_f64 v[12:13], v[230:231], s[18:19], -v[6:7]
	v_add_f64 v[172:173], v[12:13], v[30:31]
	v_fma_f64 v[12:13], v[204:205], s[16:17], -v[16:17]
	v_mul_f64 v[204:205], v[239:240], s[36:37]
	v_add_f64 v[10:11], v[12:13], v[10:11]
	v_fma_f64 v[12:13], v[210:211], s[36:37], -v[20:21]
	v_add_f64 v[10:11], v[14:15], v[10:11]
	v_fma_f64 v[14:15], v[112:113], s[20:21], -v[22:23]
	;; [unrolled: 2-line block ×3, first 2 shown]
	v_mul_f64 v[214:215], v[224:225], s[34:35]
	v_add_f64 v[10:11], v[14:15], v[10:11]
	v_fma_f64 v[14:15], v[218:219], s[44:45], v[28:29]
	v_add_f64 v[10:11], v[12:13], v[10:11]
	v_fma_f64 v[12:13], v[237:238], s[40:41], v[26:27]
	v_add_f64 v[2:3], v[2:3], v[10:11]
	v_add_f64 v[12:13], v[116:117], v[12:13]
	;; [unrolled: 1-line block ×3, first 2 shown]
	v_fma_f64 v[14:15], v[239:240], s[16:17], v[32:33]
	v_add_f64 v[12:13], v[14:15], v[12:13]
	v_fma_f64 v[14:15], v[222:223], s[10:11], v[34:35]
	v_mul_f64 v[34:35], v[241:242], s[26:27]
	v_add_f64 v[12:13], v[14:15], v[12:13]
	v_fma_f64 v[14:15], v[200:201], s[36:37], v[36:37]
	v_add_f64 v[12:13], v[14:15], v[12:13]
	v_fma_f64 v[14:15], v[253:254], s[20:21], v[38:39]
	v_mul_f64 v[38:39], v[237:238], s[10:11]
	v_add_f64 v[12:13], v[14:15], v[12:13]
	buffer_load_dword v14, off, s[64:67], 0 offset:556 ; 4-byte Folded Reload
	buffer_load_dword v15, off, s[64:67], 0 offset:560 ; 4-byte Folded Reload
	;; [unrolled: 1-line block ×6, first 2 shown]
	v_add_f64 v[0:1], v[0:1], v[12:13]
	v_mul_f64 v[12:13], v[245:246], s[38:39]
	s_waitcnt vmcnt(4)
	v_add_f64 v[12:13], v[14:15], -v[12:13]
	v_mul_f64 v[14:15], v[241:242], s[30:31]
	s_waitcnt vmcnt(2)
	v_add_f64 v[14:15], v[16:17], -v[14:15]
	v_mul_f64 v[16:17], v[220:221], s[34:35]
	v_add_f64 v[14:15], v[118:119], v[14:15]
	s_waitcnt vmcnt(0)
	v_add_f64 v[16:17], v[18:19], -v[16:17]
	buffer_load_dword v18, off, s[64:67], 0 offset:788 ; 4-byte Folded Reload
	buffer_load_dword v19, off, s[64:67], 0 offset:792 ; 4-byte Folded Reload
	v_add_f64 v[14:15], v[16:17], v[14:15]
	v_mul_f64 v[16:17], v[224:225], s[42:43]
	v_add_f64 v[12:13], v[12:13], v[14:15]
	v_mul_f64 v[14:15], v[202:203], s[24:25]
	s_waitcnt vmcnt(0)
	v_add_f64 v[16:17], v[18:19], -v[16:17]
	buffer_load_dword v18, off, s[64:67], 0 offset:564 ; 4-byte Folded Reload
	buffer_load_dword v19, off, s[64:67], 0 offset:568 ; 4-byte Folded Reload
	v_add_f64 v[12:13], v[16:17], v[12:13]
	v_mul_f64 v[16:17], v[216:217], s[54:55]
	s_waitcnt vmcnt(0)
	v_add_f64 v[14:15], v[18:19], -v[14:15]
	buffer_load_dword v18, off, s[64:67], 0 offset:572 ; 4-byte Folded Reload
	buffer_load_dword v19, off, s[64:67], 0 offset:576 ; 4-byte Folded Reload
	;; [unrolled: 6-line block ×5, first 2 shown]
	buffer_load_dword v20, off, s[64:67], 0 offset:420 ; 4-byte Folded Reload
	buffer_load_dword v21, off, s[64:67], 0 offset:424 ; 4-byte Folded Reload
	;; [unrolled: 1-line block ×4, first 2 shown]
	s_waitcnt vmcnt(4)
	v_add_f64 v[14:15], v[14:15], v[18:19]
	v_mul_f64 v[18:19], v[237:238], s[20:21]
	s_waitcnt vmcnt(2)
	v_add_f64 v[18:19], v[18:19], v[20:21]
	v_mul_f64 v[20:21], v[218:219], s[36:37]
	v_add_f64 v[18:19], v[116:117], v[18:19]
	s_waitcnt vmcnt(0)
	v_add_f64 v[20:21], v[20:21], v[22:23]
	buffer_load_dword v22, off, s[64:67], 0 offset:740 ; 4-byte Folded Reload
	buffer_load_dword v23, off, s[64:67], 0 offset:744 ; 4-byte Folded Reload
	v_add_f64 v[18:19], v[20:21], v[18:19]
	v_mul_f64 v[20:21], v[222:223], s[8:9]
	v_add_f64 v[14:15], v[14:15], v[18:19]
	v_mul_f64 v[18:19], v[200:201], s[10:11]
	s_waitcnt vmcnt(0)
	v_add_f64 v[20:21], v[20:21], v[22:23]
	buffer_load_dword v22, off, s[64:67], 0 offset:748 ; 4-byte Folded Reload
	buffer_load_dword v23, off, s[64:67], 0 offset:752 ; 4-byte Folded Reload
	;; [unrolled: 1-line block ×28, first 2 shown]
	v_add_f64 v[14:15], v[20:21], v[14:15]
	v_mul_f64 v[20:21], v[253:254], s[44:45]
	s_waitcnt vmcnt(26)
	v_add_f64 v[18:19], v[18:19], v[22:23]
	v_mul_f64 v[22:23], v[241:242], s[24:25]
	s_waitcnt vmcnt(22)
	v_add_f64 v[20:21], v[20:21], v[26:27]
	v_mul_f64 v[26:27], v[228:229], s[18:19]
	v_add_f64 v[14:15], v[18:19], v[14:15]
	v_add_f64 v[22:23], v[24:25], -v[22:23]
	v_mul_f64 v[24:25], v[220:221], s[28:29]
	s_waitcnt vmcnt(18)
	v_add_f64 v[26:27], v[26:27], v[30:31]
	v_mul_f64 v[30:31], v[224:225], s[38:39]
	s_waitcnt vmcnt(2)
	v_add_f64 v[38:39], v[38:39], v[208:209]
	v_mul_f64 v[208:209], v[222:223], s[20:21]
	s_waitcnt vmcnt(0)
	v_add_f64 v[34:35], v[210:211], -v[34:35]
	v_mul_f64 v[210:211], v[224:225], s[30:31]
	v_add_f64 v[22:23], v[118:119], v[22:23]
	v_add_f64 v[24:25], v[28:29], -v[24:25]
	v_mul_f64 v[28:29], v[245:246], s[50:51]
	v_add_f64 v[30:31], v[36:37], -v[30:31]
	v_mul_f64 v[36:37], v[202:203], s[58:59]
	v_add_f64 v[14:15], v[20:21], v[14:15]
	v_mul_f64 v[18:19], v[237:238], s[8:9]
	v_mul_f64 v[20:21], v[237:238], s[16:17]
	v_add_f64 v[34:35], v[118:119], v[34:35]
	v_add_f64 v[22:23], v[24:25], v[22:23]
	v_add_f64 v[28:29], v[32:33], -v[28:29]
	v_mul_f64 v[24:25], v[230:231], s[16:17]
	v_add_f64 v[36:37], v[42:43], -v[36:37]
	v_mul_f64 v[42:43], v[220:221], s[26:27]
	v_add_f64 v[26:27], v[26:27], v[14:15]
	v_mul_f64 v[14:15], v[216:217], s[22:23]
	v_add_f64 v[38:39], v[116:117], v[38:39]
	;; [unrolled: 2-line block ×4, first 2 shown]
	v_mul_f64 v[40:41], v[218:219], s[16:17]
	v_mul_f64 v[241:242], v[243:244], s[54:55]
	v_add_f64 v[14:15], v[178:179], -v[14:15]
	v_mul_f64 v[178:179], v[239:240], s[10:11]
	v_add_f64 v[22:23], v[30:31], v[22:23]
	v_mul_f64 v[30:31], v[222:223], s[40:41]
	v_add_f64 v[28:29], v[112:113], -v[28:29]
	v_mul_f64 v[112:113], v[218:219], s[20:21]
	buffer_load_dword v218, off, s[64:67], 0 offset:284 ; 4-byte Folded Reload
	buffer_load_dword v219, off, s[64:67], 0 offset:288 ; 4-byte Folded Reload
	;; [unrolled: 1-line block ×14, first 2 shown]
	v_add_f64 v[30:31], v[30:31], v[184:185]
	v_mul_f64 v[184:185], v[239:240], s[18:19]
	v_fma_f64 v[239:240], v[230:231], s[18:19], v[6:7]
	v_add_f64 v[6:7], v[16:17], v[12:13]
	buffer_load_dword v12, off, s[64:67], 0 offset:444 ; 4-byte Folded Reload
	buffer_load_dword v13, off, s[64:67], 0 offset:448 ; 4-byte Folded Reload
	v_add_f64 v[22:23], v[36:37], v[22:23]
	buffer_load_dword v16, off, s[64:67], 0 offset:540 ; 4-byte Folded Reload
	buffer_load_dword v17, off, s[64:67], 0 offset:544 ; 4-byte Folded Reload
	v_mul_f64 v[36:37], v[245:246], s[24:25]
	v_add_f64 v[0:1], v[239:240], v[0:1]
	v_add_f64 v[10:11], v[14:15], v[22:23]
	buffer_load_dword v22, off, s[64:67], 0 offset:428 ; 4-byte Folded Reload
	buffer_load_dword v23, off, s[64:67], 0 offset:432 ; 4-byte Folded Reload
	v_add_f64 v[10:11], v[28:29], v[10:11]
	buffer_load_dword v28, off, s[64:67], 0 offset:500 ; 4-byte Folded Reload
	buffer_load_dword v29, off, s[64:67], 0 offset:504 ; 4-byte Folded Reload
	s_waitcnt vmcnt(20)
	v_add_f64 v[176:177], v[176:177], v[218:219]
	s_waitcnt vmcnt(18)
	v_add_f64 v[204:205], v[204:205], v[220:221]
	s_waitcnt vmcnt(16)
	v_add_f64 v[114:115], v[222:223], -v[114:115]
	s_waitcnt vmcnt(14)
	v_add_f64 v[186:187], v[224:225], -v[186:187]
	v_mul_f64 v[220:221], v[202:203], s[48:49]
	v_mul_f64 v[202:203], v[202:203], s[52:53]
	s_waitcnt vmcnt(12)
	v_add_f64 v[214:215], v[232:233], -v[214:215]
	v_mul_f64 v[224:225], v[216:217], s[28:29]
	v_mul_f64 v[216:217], v[216:217], s[38:39]
	v_add_f64 v[38:39], v[176:177], v[38:39]
	v_add_f64 v[34:35], v[114:115], v[34:35]
	v_mul_f64 v[218:219], v[200:201], s[40:41]
	v_mul_f64 v[222:223], v[200:201], s[44:45]
	s_waitcnt vmcnt(8)
	v_add_f64 v[202:203], v[237:238], -v[202:203]
	v_mul_f64 v[200:201], v[200:201], s[16:17]
	v_mul_f64 v[232:233], v[206:207], s[54:55]
	s_waitcnt vmcnt(6)
	v_add_f64 v[12:13], v[12:13], -v[216:217]
	v_add_f64 v[38:39], v[204:205], v[38:39]
	v_add_f64 v[34:35], v[186:187], v[34:35]
	v_mul_f64 v[206:207], v[206:207], s[56:57]
	v_mul_f64 v[237:238], v[230:231], s[8:9]
	s_waitcnt vmcnt(2)
	v_add_f64 v[22:23], v[226:227], v[22:23]
	v_add_f64 v[200:201], v[200:201], v[234:235]
	v_mul_f64 v[234:235], v[230:231], s[36:37]
	v_mul_f64 v[230:231], v[230:231], s[44:45]
	v_add_f64 v[30:31], v[30:31], v[38:39]
	v_add_f64 v[34:35], v[214:215], v[34:35]
	v_mul_f64 v[176:177], v[253:254], s[18:19]
	v_mul_f64 v[114:115], v[253:254], s[40:41]
	s_waitcnt vmcnt(0)
	v_add_f64 v[28:29], v[28:29], -v[206:207]
	v_mul_f64 v[204:205], v[228:229], s[44:45]
	v_mul_f64 v[186:187], v[228:229], s[10:11]
	;; [unrolled: 1-line block ×3, first 2 shown]
	v_add_f64 v[30:31], v[200:201], v[30:31]
	v_add_f64 v[14:15], v[202:203], v[34:35]
	v_mul_f64 v[38:39], v[243:244], s[34:35]
	v_mul_f64 v[214:215], v[243:244], s[42:43]
	v_add_f64 v[16:17], v[16:17], -v[241:242]
	v_add_f64 v[22:23], v[22:23], v[30:31]
	v_add_f64 v[12:13], v[12:13], v[14:15]
	buffer_load_dword v14, off, s[64:67], 0 offset:532 ; 4-byte Folded Reload
	buffer_load_dword v15, off, s[64:67], 0 offset:536 ; 4-byte Folded Reload
	v_add_f64 v[10:11], v[16:17], v[10:11]
	v_add_f64 v[12:13], v[28:29], v[12:13]
	s_waitcnt vmcnt(0)
	v_add_f64 v[34:35], v[230:231], v[14:15]
	buffer_load_dword v14, off, s[64:67], 0 offset:492 ; 4-byte Folded Reload
	buffer_load_dword v15, off, s[64:67], 0 offset:496 ; 4-byte Folded Reload
	;; [unrolled: 1-line block ×8, first 2 shown]
	s_waitcnt vmcnt(6)
	v_add_f64 v[14:15], v[228:229], v[14:15]
	s_waitcnt vmcnt(4)
	v_add_f64 v[30:31], v[30:31], -v[214:215]
	s_waitcnt vmcnt(2)
	v_add_f64 v[32:33], v[124:125], -v[32:33]
	s_waitcnt vmcnt(0)
	v_add_f64 v[18:19], v[18:19], v[28:29]
	buffer_load_dword v28, off, s[64:67], 0 offset:636 ; 4-byte Folded Reload
	buffer_load_dword v29, off, s[64:67], 0 offset:640 ; 4-byte Folded Reload
	v_add_f64 v[32:33], v[118:119], v[32:33]
	v_add_f64 v[18:19], v[116:117], v[18:19]
	s_waitcnt vmcnt(0)
	v_add_f64 v[20:21], v[20:21], v[28:29]
	buffer_load_dword v28, off, s[64:67], 0 offset:700 ; 4-byte Folded Reload
	buffer_load_dword v29, off, s[64:67], 0 offset:704 ; 4-byte Folded Reload
	v_add_f64 v[20:21], v[116:117], v[20:21]
	s_waitcnt vmcnt(0)
	v_add_f64 v[28:29], v[112:113], v[28:29]
	buffer_load_dword v112, off, s[64:67], 0 offset:652 ; 4-byte Folded Reload
	buffer_load_dword v113, off, s[64:67], 0 offset:656 ; 4-byte Folded Reload
	v_add_f64 v[20:21], v[28:29], v[20:21]
	s_waitcnt vmcnt(0)
	v_add_f64 v[42:43], v[112:113], -v[42:43]
	buffer_load_dword v112, off, s[64:67], 0 offset:628 ; 4-byte Folded Reload
	buffer_load_dword v113, off, s[64:67], 0 offset:632 ; 4-byte Folded Reload
	v_add_f64 v[32:33], v[42:43], v[32:33]
	s_waitcnt vmcnt(0)
	v_add_f64 v[40:41], v[40:41], v[112:113]
	buffer_load_dword v112, off, s[64:67], 0 offset:220 ; 4-byte Folded Reload
	buffer_load_dword v113, off, s[64:67], 0 offset:224 ; 4-byte Folded Reload
	;; [unrolled: 1-line block ×8, first 2 shown]
	v_add_f64 v[18:19], v[40:41], v[18:19]
	buffer_load_dword v40, off, s[64:67], 0 offset:252 ; 4-byte Folded Reload
	buffer_load_dword v41, off, s[64:67], 0 offset:256 ; 4-byte Folded Reload
	s_waitcnt vmcnt(8)
	v_add_f64 v[112:113], v[184:185], v[112:113]
	s_waitcnt vmcnt(6)
	v_add_f64 v[36:37], v[116:117], -v[36:37]
	s_waitcnt vmcnt(4)
	v_add_f64 v[42:43], v[178:179], v[42:43]
	s_waitcnt vmcnt(2)
	v_add_f64 v[28:29], v[212:213], v[28:29]
	v_add_f64 v[20:21], v[112:113], v[20:21]
	;; [unrolled: 1-line block ×3, first 2 shown]
	buffer_load_dword v36, off, s[64:67], 0 offset:244 ; 4-byte Folded Reload
	buffer_load_dword v37, off, s[64:67], 0 offset:248 ; 4-byte Folded Reload
	v_add_f64 v[18:19], v[42:43], v[18:19]
	buffer_load_dword v42, off, s[64:67], 0 offset:308 ; 4-byte Folded Reload
	buffer_load_dword v43, off, s[64:67], 0 offset:312 ; 4-byte Folded Reload
	;; [unrolled: 1-line block ×4, first 2 shown]
	s_waitcnt vmcnt(6)
	v_add_f64 v[40:41], v[40:41], -v[210:211]
	v_add_f64 v[20:21], v[28:29], v[20:21]
	v_add_f64 v[32:33], v[40:41], v[32:33]
	buffer_load_dword v40, off, s[64:67], 0 offset:292 ; 4-byte Folded Reload
	buffer_load_dword v41, off, s[64:67], 0 offset:296 ; 4-byte Folded Reload
	;; [unrolled: 1-line block ×4, first 2 shown]
	s_waitcnt vmcnt(8)
	v_add_f64 v[36:37], v[208:209], v[36:37]
	s_waitcnt vmcnt(6)
	v_add_f64 v[42:43], v[222:223], v[42:43]
	s_waitcnt vmcnt(4)
	v_add_f64 v[112:113], v[112:113], -v[220:221]
	v_add_f64 v[18:19], v[36:37], v[18:19]
	buffer_load_dword v36, off, s[64:67], 0 offset:348 ; 4-byte Folded Reload
	buffer_load_dword v37, off, s[64:67], 0 offset:352 ; 4-byte Folded Reload
	v_add_f64 v[20:21], v[42:43], v[20:21]
	v_add_f64 v[32:33], v[112:113], v[32:33]
	buffer_load_dword v112, off, s[64:67], 0 offset:332 ; 4-byte Folded Reload
	buffer_load_dword v113, off, s[64:67], 0 offset:336 ; 4-byte Folded Reload
	s_waitcnt vmcnt(6)
	v_add_f64 v[40:41], v[218:219], v[40:41]
	s_waitcnt vmcnt(4)
	v_add_f64 v[28:29], v[114:115], v[28:29]
	v_add_f64 v[18:19], v[40:41], v[18:19]
	buffer_load_dword v40, off, s[64:67], 0 offset:412 ; 4-byte Folded Reload
	buffer_load_dword v41, off, s[64:67], 0 offset:416 ; 4-byte Folded Reload
	;; [unrolled: 1-line block ×4, first 2 shown]
	v_add_f64 v[20:21], v[28:29], v[20:21]
	s_waitcnt vmcnt(6)
	v_add_f64 v[36:37], v[36:37], -v[224:225]
	s_waitcnt vmcnt(4)
	v_add_f64 v[112:113], v[176:177], v[112:113]
	v_add_f64 v[32:33], v[36:37], v[32:33]
	buffer_load_dword v36, off, s[64:67], 0 offset:388 ; 4-byte Folded Reload
	buffer_load_dword v37, off, s[64:67], 0 offset:392 ; 4-byte Folded Reload
	;; [unrolled: 1-line block ×4, first 2 shown]
	v_add_f64 v[18:19], v[112:113], v[18:19]
	buffer_load_dword v112, off, s[64:67], 0 offset:476 ; 4-byte Folded Reload
	buffer_load_dword v113, off, s[64:67], 0 offset:480 ; 4-byte Folded Reload
	s_waitcnt vmcnt(8)
	v_add_f64 v[40:41], v[186:187], v[40:41]
	s_waitcnt vmcnt(6)
	v_add_f64 v[42:43], v[42:43], -v[232:233]
	v_add_f64 v[40:41], v[40:41], v[20:21]
	v_add_f64 v[32:33], v[42:43], v[32:33]
	buffer_load_dword v42, off, s[64:67], 0 offset:468 ; 4-byte Folded Reload
	buffer_load_dword v43, off, s[64:67], 0 offset:472 ; 4-byte Folded Reload
	v_add_f64 v[20:21], v[8:9], v[156:157]
	s_waitcnt vmcnt(6)
	v_add_f64 v[36:37], v[204:205], v[36:37]
	s_waitcnt vmcnt(4)
	;; [unrolled: 2-line block ×3, first 2 shown]
	v_add_f64 v[38:39], v[112:113], -v[38:39]
	v_add_f64 v[112:113], v[14:15], v[22:23]
	v_add_f64 v[22:23], v[4:5], v[158:159]
	;; [unrolled: 1-line block ×3, first 2 shown]
	buffer_load_dword v24, off, s[64:67], 0 offset:8 ; 4-byte Folded Reload
	v_add_f64 v[36:37], v[36:37], v[18:19]
	v_add_f64 v[14:15], v[30:31], v[12:13]
	;; [unrolled: 1-line block ×5, first 2 shown]
	s_waitcnt vmcnt(1)
	v_add_f64 v[42:43], v[234:235], v[42:43]
	v_add_f64 v[16:17], v[42:43], v[36:37]
	s_waitcnt vmcnt(0)
	v_mul_lo_u16_e32 v24, 17, v24
	v_lshlrev_b32_e32 v24, 4, v24
	ds_write_b128 v24, v[20:23]
	ds_write_b128 v24, v[16:19] offset:16
	ds_write_b128 v24, v[12:15] offset:32
	;; [unrolled: 1-line block ×7, first 2 shown]
	buffer_load_dword v0, off, s[64:67], 0 offset:660 ; 4-byte Folded Reload
	buffer_load_dword v1, off, s[64:67], 0 offset:664 ; 4-byte Folded Reload
	buffer_load_dword v2, off, s[64:67], 0 offset:668 ; 4-byte Folded Reload
	buffer_load_dword v3, off, s[64:67], 0 offset:672 ; 4-byte Folded Reload
	s_waitcnt vmcnt(0)
	ds_write_b128 v24, v[0:3] offset:128
	buffer_load_dword v0, off, s[64:67], 0 offset:588 ; 4-byte Folded Reload
	buffer_load_dword v1, off, s[64:67], 0 offset:592 ; 4-byte Folded Reload
	buffer_load_dword v2, off, s[64:67], 0 offset:596 ; 4-byte Folded Reload
	buffer_load_dword v3, off, s[64:67], 0 offset:600 ; 4-byte Folded Reload
	s_waitcnt vmcnt(0)
	ds_write_b128 v24, v[0:3] offset:144
	;; [unrolled: 6-line block ×3, first 2 shown]
	ds_write_b128 v24, v[164:167] offset:176
	ds_write_b128 v24, v[172:175] offset:192
	;; [unrolled: 1-line block ×6, first 2 shown]
.LBB0_17:
	s_or_b64 exec, exec, s[46:47]
	s_waitcnt lgkmcnt(0)
	s_barrier
	ds_read_b128 v[0:3], v255 offset:2448
	ds_read_b128 v[4:7], v255 offset:4896
	ds_read_b128 v[16:19], v255
	ds_read_b128 v[8:11], v255 offset:7344
	s_mov_b32 s16, 0x4267c47c
	s_mov_b32 s8, 0xe00740e9
	s_waitcnt lgkmcnt(2)
	v_mul_f64 v[20:21], v[74:75], v[6:7]
	v_mul_f64 v[12:13], v[78:79], v[2:3]
	v_mul_f64 v[14:15], v[78:79], v[0:1]
	v_mul_f64 v[22:23], v[74:75], v[4:5]
	s_mov_b32 s17, 0xbfddbe06
	s_mov_b32 s9, 0x3fec55a7
	;; [unrolled: 1-line block ×4, first 2 shown]
	v_fma_f64 v[36:37], v[72:73], v[4:5], v[20:21]
	v_fma_f64 v[24:25], v[76:77], v[0:1], v[12:13]
	v_fma_f64 v[26:27], v[76:77], v[2:3], -v[14:15]
	ds_read_b128 v[0:3], v255 offset:9792
	ds_read_b128 v[12:15], v255 offset:12240
	buffer_load_dword v40, off, s[64:67], 0 offset:76 ; 4-byte Folded Reload
	buffer_load_dword v41, off, s[64:67], 0 offset:80 ; 4-byte Folded Reload
	;; [unrolled: 1-line block ×4, first 2 shown]
	v_fma_f64 v[38:39], v[72:73], v[6:7], -v[22:23]
	ds_read_b128 v[4:7], v255 offset:14688
	ds_read_b128 v[20:23], v255 offset:17136
	buffer_load_dword v116, off, s[64:67], 0 offset:44 ; 4-byte Folded Reload
	buffer_load_dword v117, off, s[64:67], 0 offset:48 ; 4-byte Folded Reload
	;; [unrolled: 1-line block ×4, first 2 shown]
	s_waitcnt lgkmcnt(2)
	v_mul_f64 v[78:79], v[70:71], v[14:15]
	v_add_f64 v[32:33], v[16:17], v[24:25]
	v_add_f64 v[34:35], v[18:19], v[26:27]
	v_mul_f64 v[112:113], v[70:71], v[12:13]
	s_mov_b32 s34, 0xb2365da1
	s_mov_b32 s38, 0x24c2f84
	;; [unrolled: 1-line block ×30, first 2 shown]
	s_waitcnt vmcnt(4)
	v_mul_f64 v[28:29], v[42:43], v[10:11]
	v_mul_f64 v[30:31], v[42:43], v[8:9]
	s_waitcnt vmcnt(0)
	v_mul_f64 v[46:47], v[118:119], v[2:3]
	v_mul_f64 v[72:73], v[118:119], v[0:1]
	s_waitcnt lgkmcnt(1)
	v_mul_f64 v[118:119], v[50:51], v[6:7]
	v_mul_f64 v[50:51], v[50:51], v[4:5]
	v_fma_f64 v[74:75], v[40:41], v[8:9], v[28:29]
	v_add_f64 v[8:9], v[32:33], v[36:37]
	v_fma_f64 v[76:77], v[40:41], v[10:11], -v[30:31]
	v_add_f64 v[10:11], v[34:35], v[38:39]
	ds_read_b128 v[28:31], v255 offset:19584
	ds_read_b128 v[40:43], v255 offset:22032
	v_fma_f64 v[114:115], v[116:117], v[0:1], v[46:47]
	v_fma_f64 v[116:117], v[116:117], v[2:3], -v[72:73]
	ds_read_b128 v[32:35], v255 offset:24480
	ds_read_b128 v[44:47], v255 offset:26928
	;; [unrolled: 1-line block ×3, first 2 shown]
	buffer_load_dword v122, off, s[64:67], 0 offset:60 ; 4-byte Folded Reload
	buffer_load_dword v123, off, s[64:67], 0 offset:64 ; 4-byte Folded Reload
	;; [unrolled: 1-line block ×4, first 2 shown]
	v_add_f64 v[0:1], v[8:9], v[74:75]
	v_fma_f64 v[8:9], v[68:69], v[12:13], v[78:79]
	v_add_f64 v[2:3], v[10:11], v[76:77]
	v_fma_f64 v[10:11], v[68:69], v[14:15], -v[112:113]
	s_waitcnt lgkmcnt(2)
	v_mul_f64 v[112:113], v[58:59], v[34:35]
	v_add_f64 v[12:13], v[0:1], v[114:115]
	v_fma_f64 v[0:1], v[48:49], v[4:5], v[118:119]
	buffer_load_dword v118, off, s[64:67], 0 offset:28 ; 4-byte Folded Reload
	buffer_load_dword v119, off, s[64:67], 0 offset:32 ; 4-byte Folded Reload
	;; [unrolled: 1-line block ×4, first 2 shown]
	v_add_f64 v[14:15], v[2:3], v[116:117]
	v_fma_f64 v[2:3], v[48:49], v[6:7], -v[50:51]
	s_waitcnt vmcnt(0) lgkmcnt(0)
	s_barrier
	v_add_f64 v[12:13], v[12:13], v[8:9]
	v_add_f64 v[14:15], v[14:15], v[10:11]
	v_mul_f64 v[68:69], v[124:125], v[22:23]
	v_mul_f64 v[78:79], v[124:125], v[20:21]
	v_fma_f64 v[4:5], v[122:123], v[20:21], v[68:69]
	v_add_f64 v[20:21], v[12:13], v[0:1]
	v_fma_f64 v[6:7], v[122:123], v[22:23], -v[78:79]
	v_mul_f64 v[48:49], v[120:121], v[30:31]
	v_mul_f64 v[50:51], v[120:121], v[28:29]
	v_add_f64 v[22:23], v[14:15], v[2:3]
	v_mul_f64 v[68:69], v[66:67], v[42:43]
	v_mul_f64 v[78:79], v[62:63], v[70:71]
	;; [unrolled: 1-line block ×3, first 2 shown]
	v_add_f64 v[20:21], v[20:21], v[4:5]
	v_fma_f64 v[12:13], v[118:119], v[28:29], v[48:49]
	v_fma_f64 v[14:15], v[118:119], v[30:31], -v[50:51]
	v_add_f64 v[22:23], v[22:23], v[6:7]
	v_mul_f64 v[28:29], v[62:63], v[72:73]
	v_fma_f64 v[48:49], v[60:61], v[72:73], -v[78:79]
	v_fma_f64 v[40:41], v[64:65], v[40:41], v[68:69]
	v_mul_f64 v[30:31], v[58:59], v[32:33]
	v_mul_f64 v[50:51], v[54:55], v[46:47]
	v_add_f64 v[20:21], v[20:21], v[12:13]
	v_fma_f64 v[42:43], v[64:65], v[42:43], -v[66:67]
	v_add_f64 v[22:23], v[22:23], v[14:15]
	v_fma_f64 v[28:29], v[60:61], v[70:71], v[28:29]
	v_add_f64 v[58:59], v[26:27], -v[48:49]
	v_add_f64 v[26:27], v[26:27], v[48:49]
	v_fma_f64 v[32:33], v[56:57], v[32:33], v[112:113]
	v_mul_f64 v[54:55], v[54:55], v[44:45]
	v_add_f64 v[20:21], v[20:21], v[40:41]
	v_fma_f64 v[30:31], v[56:57], v[34:35], -v[30:31]
	v_add_f64 v[22:23], v[22:23], v[42:43]
	v_add_f64 v[34:35], v[24:25], v[28:29]
	v_add_f64 v[24:25], v[24:25], -v[28:29]
	v_mul_f64 v[56:57], v[58:59], s[16:17]
	v_mul_f64 v[60:61], v[26:27], s[8:9]
	v_fma_f64 v[50:51], v[52:53], v[44:45], v[50:51]
	v_add_f64 v[20:21], v[20:21], v[32:33]
	v_fma_f64 v[52:53], v[52:53], v[46:47], -v[54:55]
	v_add_f64 v[22:23], v[22:23], v[30:31]
	v_mul_f64 v[112:113], v[26:27], s[34:35]
	v_mul_f64 v[118:119], v[58:59], s[38:39]
	v_fma_f64 v[44:45], v[34:35], s[8:9], v[56:57]
	v_fma_f64 v[54:55], v[34:35], s[8:9], -v[56:57]
	v_fma_f64 v[56:57], v[24:25], s[16:17], v[60:61]
	v_add_f64 v[20:21], v[20:21], v[50:51]
	v_fma_f64 v[46:47], v[24:25], s[30:31], v[60:61]
	v_add_f64 v[22:23], v[22:23], v[52:53]
	v_mul_f64 v[120:121], v[26:27], s[40:41]
	v_add_f64 v[128:129], v[38:39], v[52:53]
	v_add_f64 v[62:63], v[16:17], v[44:45]
	v_add_f64 v[38:39], v[38:39], -v[52:53]
	v_mul_f64 v[60:61], v[58:59], s[22:23]
	v_add_f64 v[44:45], v[20:21], v[28:29]
	v_add_f64 v[20:21], v[18:19], v[56:57]
	v_mul_f64 v[28:29], v[26:27], s[24:25]
	v_mul_f64 v[56:57], v[26:27], s[18:19]
	;; [unrolled: 1-line block ×3, first 2 shown]
	v_add_f64 v[64:65], v[18:19], v[46:47]
	v_add_f64 v[46:47], v[22:23], v[48:49]
	v_mul_f64 v[48:49], v[58:59], s[10:11]
	v_mul_f64 v[72:73], v[58:59], s[28:29]
	v_fma_f64 v[122:123], v[24:25], s[36:37], v[112:113]
	v_fma_f64 v[66:67], v[24:25], s[26:27], v[28:29]
	;; [unrolled: 1-line block ×8, first 2 shown]
	v_mul_f64 v[58:59], v[58:59], s[44:45]
	v_fma_f64 v[118:119], v[34:35], s[40:41], -v[118:119]
	v_fma_f64 v[120:121], v[24:25], s[38:39], v[120:121]
	v_add_f64 v[130:131], v[36:37], v[50:51]
	v_add_f64 v[36:37], v[36:37], -v[50:51]
	v_mul_f64 v[50:51], v[38:39], s[22:23]
	v_mul_f64 v[132:133], v[128:129], s[24:25]
	v_fma_f64 v[134:135], v[24:25], s[48:49], v[26:27]
	v_fma_f64 v[24:25], v[24:25], s[44:45], v[26:27]
	;; [unrolled: 1-line block ×3, first 2 shown]
	v_fma_f64 v[60:61], v[34:35], s[24:25], -v[60:61]
	v_fma_f64 v[68:69], v[34:35], s[18:19], v[48:49]
	v_add_f64 v[66:67], v[18:19], v[66:67]
	v_add_f64 v[28:29], v[18:19], v[28:29]
	;; [unrolled: 1-line block ×3, first 2 shown]
	v_fma_f64 v[48:49], v[34:35], s[18:19], -v[48:49]
	v_fma_f64 v[78:79], v[34:35], s[34:35], v[72:73]
	v_fma_f64 v[72:73], v[34:35], s[34:35], -v[72:73]
	v_add_f64 v[56:57], v[18:19], v[56:57]
	v_add_f64 v[122:123], v[18:19], v[122:123]
	;; [unrolled: 1-line block ×4, first 2 shown]
	v_fma_f64 v[52:53], v[34:35], s[46:47], v[58:59]
	v_fma_f64 v[34:35], v[34:35], s[46:47], -v[58:59]
	v_add_f64 v[26:27], v[16:17], v[118:119]
	v_add_f64 v[58:59], v[18:19], v[120:121]
	v_fma_f64 v[118:119], v[130:131], s[24:25], v[50:51]
	v_fma_f64 v[120:121], v[36:37], s[26:27], v[132:133]
	v_add_f64 v[134:135], v[18:19], v[134:135]
	v_add_f64 v[18:19], v[18:19], v[24:25]
	v_mul_f64 v[24:25], v[38:39], s[28:29]
	v_add_f64 v[54:55], v[16:17], v[54:55]
	v_add_f64 v[22:23], v[16:17], v[22:23]
	v_add_f64 v[60:61], v[16:17], v[60:61]
	v_add_f64 v[68:69], v[16:17], v[68:69]
	v_add_f64 v[48:49], v[16:17], v[48:49]
	v_add_f64 v[78:79], v[16:17], v[78:79]
	v_add_f64 v[72:73], v[16:17], v[72:73]
	v_add_f64 v[124:125], v[16:17], v[124:125]
	v_add_f64 v[52:53], v[16:17], v[52:53]
	v_add_f64 v[16:17], v[16:17], v[34:35]
	v_mul_f64 v[34:35], v[128:129], s[34:35]
	v_add_f64 v[62:63], v[118:119], v[62:63]
	v_add_f64 v[64:65], v[120:121], v[64:65]
	v_fma_f64 v[50:51], v[130:131], s[24:25], -v[50:51]
	v_fma_f64 v[118:119], v[36:37], s[22:23], v[132:133]
	v_mul_f64 v[120:121], v[38:39], s[44:45]
	v_mul_f64 v[132:133], v[128:129], s[46:47]
	v_fma_f64 v[136:137], v[130:131], s[34:35], v[24:25]
	v_fma_f64 v[24:25], v[130:131], s[34:35], -v[24:25]
	v_fma_f64 v[138:139], v[36:37], s[36:37], v[34:35]
	v_fma_f64 v[34:35], v[36:37], s[28:29], v[34:35]
	v_add_f64 v[50:51], v[50:51], v[54:55]
	v_add_f64 v[20:21], v[118:119], v[20:21]
	v_fma_f64 v[54:55], v[130:131], s[46:47], v[120:121]
	v_fma_f64 v[118:119], v[36:37], s[48:49], v[132:133]
	v_fma_f64 v[120:121], v[130:131], s[46:47], -v[120:121]
	v_add_f64 v[24:25], v[24:25], v[60:61]
	v_mul_f64 v[60:61], v[128:129], s[40:41]
	v_add_f64 v[66:67], v[138:139], v[66:67]
	v_add_f64 v[28:29], v[34:35], v[28:29]
	v_mul_f64 v[34:35], v[38:39], s[42:43]
	v_add_f64 v[54:55], v[54:55], v[68:69]
	v_add_f64 v[68:69], v[118:119], v[70:71]
	v_mul_f64 v[70:71], v[38:39], s[20:21]
	v_mul_f64 v[118:119], v[128:129], s[18:19]
	v_fma_f64 v[138:139], v[36:37], s[38:39], v[60:61]
	v_add_f64 v[22:23], v[136:137], v[22:23]
	v_fma_f64 v[60:61], v[36:37], s[42:43], v[60:61]
	v_fma_f64 v[136:137], v[130:131], s[40:41], v[34:35]
	v_fma_f64 v[34:35], v[130:131], s[40:41], -v[34:35]
	v_add_f64 v[48:49], v[120:121], v[48:49]
	v_fma_f64 v[140:141], v[130:131], s[18:19], v[70:71]
	v_fma_f64 v[142:143], v[36:37], s[10:11], v[118:119]
	v_add_f64 v[120:121], v[138:139], v[122:123]
	v_add_f64 v[122:123], v[76:77], -v[30:31]
	v_add_f64 v[30:31], v[76:77], v[30:31]
	v_fma_f64 v[132:133], v[36:37], s[44:45], v[132:133]
	v_add_f64 v[34:35], v[34:35], v[72:73]
	v_add_f64 v[60:61], v[60:61], v[112:113]
	;; [unrolled: 1-line block ×4, first 2 shown]
	v_mul_f64 v[38:39], v[38:39], s[30:31]
	v_mul_f64 v[76:77], v[128:129], s[8:9]
	v_fma_f64 v[70:71], v[130:131], s[18:19], -v[70:71]
	v_add_f64 v[124:125], v[74:75], v[32:33]
	v_add_f64 v[32:33], v[74:75], -v[32:33]
	v_mul_f64 v[74:75], v[122:123], s[10:11]
	v_mul_f64 v[126:127], v[30:31], s[18:19]
	v_add_f64 v[56:57], v[132:133], v[56:57]
	v_fma_f64 v[118:119], v[36:37], s[20:21], v[118:119]
	v_fma_f64 v[128:129], v[130:131], s[8:9], v[38:39]
	;; [unrolled: 1-line block ×3, first 2 shown]
	v_fma_f64 v[38:39], v[130:131], s[8:9], -v[38:39]
	v_fma_f64 v[36:37], v[36:37], s[30:31], v[76:77]
	v_add_f64 v[26:27], v[70:71], v[26:27]
	v_fma_f64 v[70:71], v[124:125], s[18:19], v[74:75]
	v_fma_f64 v[76:77], v[32:33], s[20:21], v[126:127]
	v_add_f64 v[58:59], v[118:119], v[58:59]
	v_add_f64 v[52:53], v[128:129], v[52:53]
	;; [unrolled: 1-line block ×5, first 2 shown]
	v_mul_f64 v[36:37], v[122:123], s[44:45]
	v_mul_f64 v[38:39], v[30:31], s[46:47]
	v_add_f64 v[62:63], v[70:71], v[62:63]
	v_add_f64 v[64:65], v[76:77], v[64:65]
	v_fma_f64 v[70:71], v[124:125], s[18:19], -v[74:75]
	v_mul_f64 v[76:77], v[122:123], s[36:37]
	v_fma_f64 v[74:75], v[32:33], s[10:11], v[126:127]
	v_mul_f64 v[126:127], v[30:31], s[34:35]
	v_fma_f64 v[128:129], v[124:125], s[46:47], v[36:37]
	v_fma_f64 v[130:131], v[32:33], s[48:49], v[38:39]
	v_fma_f64 v[36:37], v[124:125], s[46:47], -v[36:37]
	v_fma_f64 v[38:39], v[32:33], s[44:45], v[38:39]
	v_add_f64 v[50:51], v[70:71], v[50:51]
	v_fma_f64 v[70:71], v[124:125], s[34:35], v[76:77]
	v_add_f64 v[20:21], v[74:75], v[20:21]
	;; [unrolled: 2-line block ×3, first 2 shown]
	v_add_f64 v[66:67], v[130:131], v[66:67]
	v_add_f64 v[24:25], v[36:37], v[24:25]
	;; [unrolled: 1-line block ×3, first 2 shown]
	v_mul_f64 v[36:37], v[122:123], s[30:31]
	v_mul_f64 v[38:39], v[30:31], s[8:9]
	v_add_f64 v[54:55], v[70:71], v[54:55]
	v_mul_f64 v[70:71], v[122:123], s[22:23]
	v_add_f64 v[68:69], v[74:75], v[68:69]
	;; [unrolled: 2-line block ×3, first 2 shown]
	v_fma_f64 v[76:77], v[124:125], s[34:35], -v[76:77]
	v_fma_f64 v[128:129], v[124:125], s[8:9], v[36:37]
	v_fma_f64 v[130:131], v[32:33], s[16:17], v[38:39]
	v_fma_f64 v[36:37], v[124:125], s[8:9], -v[36:37]
	v_fma_f64 v[38:39], v[32:33], s[30:31], v[38:39]
	v_fma_f64 v[132:133], v[124:125], s[24:25], v[70:71]
	;; [unrolled: 1-line block ×4, first 2 shown]
	v_add_f64 v[48:49], v[76:77], v[48:49]
	v_add_f64 v[76:77], v[128:129], v[78:79]
	v_add_f64 v[78:79], v[130:131], v[120:121]
	v_add_f64 v[34:35], v[36:37], v[34:35]
	v_add_f64 v[36:37], v[38:39], v[60:61]
	v_add_f64 v[38:39], v[132:133], v[72:73]
	v_add_f64 v[72:73], v[116:117], -v[42:43]
	v_add_f64 v[42:43], v[116:117], v[42:43]
	v_add_f64 v[60:61], v[134:135], v[112:113]
	v_mul_f64 v[112:113], v[122:123], s[38:39]
	v_mul_f64 v[30:31], v[30:31], s[40:41]
	v_fma_f64 v[70:71], v[124:125], s[24:25], -v[70:71]
	v_fma_f64 v[74:75], v[32:33], s[22:23], v[74:75]
	v_add_f64 v[116:117], v[114:115], v[40:41]
	v_add_f64 v[40:41], v[114:115], -v[40:41]
	v_mul_f64 v[114:115], v[72:73], s[28:29]
	v_mul_f64 v[120:121], v[42:43], s[34:35]
	v_add_f64 v[56:57], v[126:127], v[56:57]
	v_fma_f64 v[122:123], v[124:125], s[40:41], v[112:113]
	v_fma_f64 v[126:127], v[32:33], s[42:43], v[30:31]
	v_fma_f64 v[112:113], v[124:125], s[40:41], -v[112:113]
	v_fma_f64 v[30:31], v[32:33], s[38:39], v[30:31]
	v_add_f64 v[26:27], v[70:71], v[26:27]
	v_add_f64 v[32:33], v[74:75], v[58:59]
	v_fma_f64 v[58:59], v[116:117], s[34:35], v[114:115]
	v_fma_f64 v[70:71], v[40:41], s[36:37], v[120:121]
	v_add_f64 v[52:53], v[122:123], v[52:53]
	v_add_f64 v[74:75], v[126:127], v[118:119]
	;; [unrolled: 1-line block ×4, first 2 shown]
	v_mul_f64 v[30:31], v[72:73], s[42:43]
	v_mul_f64 v[112:113], v[42:43], s[40:41]
	v_add_f64 v[58:59], v[58:59], v[62:63]
	v_add_f64 v[62:63], v[70:71], v[64:65]
	v_fma_f64 v[64:65], v[116:117], s[34:35], -v[114:115]
	v_fma_f64 v[70:71], v[40:41], s[28:29], v[120:121]
	v_mul_f64 v[114:115], v[72:73], s[30:31]
	v_mul_f64 v[118:119], v[42:43], s[8:9]
	v_fma_f64 v[120:121], v[116:117], s[40:41], v[30:31]
	v_fma_f64 v[122:123], v[40:41], s[38:39], v[112:113]
	v_fma_f64 v[30:31], v[116:117], s[40:41], -v[30:31]
	v_fma_f64 v[112:113], v[40:41], s[42:43], v[112:113]
	v_add_f64 v[50:51], v[64:65], v[50:51]
	v_add_f64 v[20:21], v[70:71], v[20:21]
	v_fma_f64 v[64:65], v[116:117], s[8:9], v[114:115]
	v_fma_f64 v[70:71], v[40:41], s[16:17], v[118:119]
	v_add_f64 v[22:23], v[120:121], v[22:23]
	v_add_f64 v[66:67], v[122:123], v[66:67]
	;; [unrolled: 1-line block ×4, first 2 shown]
	v_mul_f64 v[30:31], v[72:73], s[10:11]
	v_mul_f64 v[112:113], v[42:43], s[18:19]
	v_add_f64 v[54:55], v[64:65], v[54:55]
	v_add_f64 v[64:65], v[70:71], v[68:69]
	v_fma_f64 v[68:69], v[116:117], s[8:9], -v[114:115]
	v_mul_f64 v[114:115], v[72:73], s[48:49]
	v_fma_f64 v[70:71], v[40:41], s[30:31], v[118:119]
	v_mul_f64 v[118:119], v[42:43], s[46:47]
	v_fma_f64 v[120:121], v[116:117], s[18:19], v[30:31]
	v_fma_f64 v[122:123], v[40:41], s[20:21], v[112:113]
	v_fma_f64 v[30:31], v[116:117], s[18:19], -v[30:31]
	v_fma_f64 v[112:113], v[40:41], s[10:11], v[112:113]
	v_add_f64 v[48:49], v[68:69], v[48:49]
	v_fma_f64 v[68:69], v[116:117], s[46:47], v[114:115]
	v_add_f64 v[56:57], v[70:71], v[56:57]
	v_fma_f64 v[70:71], v[40:41], s[44:45], v[118:119]
	v_mul_f64 v[42:43], v[42:43], s[24:25]
	v_add_f64 v[76:77], v[120:121], v[76:77]
	v_add_f64 v[30:31], v[30:31], v[34:35]
	;; [unrolled: 1-line block ×3, first 2 shown]
	v_mul_f64 v[36:37], v[72:73], s[26:27]
	v_add_f64 v[38:39], v[68:69], v[38:39]
	v_add_f64 v[68:69], v[10:11], -v[14:15]
	v_add_f64 v[10:11], v[10:11], v[14:15]
	v_add_f64 v[60:61], v[70:71], v[60:61]
	v_fma_f64 v[14:15], v[116:117], s[46:47], -v[114:115]
	v_fma_f64 v[70:71], v[40:41], s[48:49], v[118:119]
	v_fma_f64 v[112:113], v[40:41], s[22:23], v[42:43]
	v_fma_f64 v[72:73], v[116:117], s[24:25], v[36:37]
	v_add_f64 v[114:115], v[8:9], v[12:13]
	v_add_f64 v[8:9], v[8:9], -v[12:13]
	v_mul_f64 v[12:13], v[68:69], s[38:39]
	v_mul_f64 v[118:119], v[10:11], s[40:41]
	v_fma_f64 v[36:37], v[116:117], s[24:25], -v[36:37]
	v_fma_f64 v[40:41], v[40:41], s[26:27], v[42:43]
	v_add_f64 v[14:15], v[14:15], v[26:27]
	v_add_f64 v[26:27], v[70:71], v[32:33]
	;; [unrolled: 1-line block ×4, first 2 shown]
	v_fma_f64 v[52:53], v[114:115], s[40:41], v[12:13]
	v_fma_f64 v[70:71], v[8:9], s[42:43], v[118:119]
	v_add_f64 v[16:17], v[36:37], v[16:17]
	v_add_f64 v[18:19], v[40:41], v[18:19]
	v_mul_f64 v[36:37], v[68:69], s[20:21]
	v_mul_f64 v[40:41], v[10:11], s[18:19]
	v_fma_f64 v[12:13], v[114:115], s[40:41], -v[12:13]
	v_fma_f64 v[72:73], v[8:9], s[38:39], v[118:119]
	v_add_f64 v[52:53], v[52:53], v[58:59]
	v_add_f64 v[58:59], v[70:71], v[62:63]
	v_mul_f64 v[62:63], v[68:69], s[22:23]
	v_mul_f64 v[70:71], v[10:11], s[24:25]
	v_fma_f64 v[74:75], v[114:115], s[18:19], v[36:37]
	v_fma_f64 v[112:113], v[8:9], s[10:11], v[40:41]
	v_add_f64 v[12:13], v[12:13], v[50:51]
	v_add_f64 v[20:21], v[72:73], v[20:21]
	v_fma_f64 v[36:37], v[114:115], s[18:19], -v[36:37]
	v_fma_f64 v[40:41], v[8:9], s[20:21], v[40:41]
	v_fma_f64 v[50:51], v[114:115], s[24:25], v[62:63]
	v_fma_f64 v[72:73], v[8:9], s[26:27], v[70:71]
	v_add_f64 v[22:23], v[74:75], v[22:23]
	v_add_f64 v[66:67], v[112:113], v[66:67]
	v_mul_f64 v[74:75], v[68:69], s[48:49]
	v_mul_f64 v[112:113], v[10:11], s[46:47]
	v_add_f64 v[78:79], v[122:123], v[78:79]
	v_add_f64 v[24:25], v[36:37], v[24:25]
	;; [unrolled: 1-line block ×5, first 2 shown]
	v_fma_f64 v[50:51], v[114:115], s[24:25], -v[62:63]
	v_fma_f64 v[54:55], v[8:9], s[22:23], v[70:71]
	v_fma_f64 v[62:63], v[114:115], s[46:47], v[74:75]
	;; [unrolled: 1-line block ×3, first 2 shown]
	v_mul_f64 v[70:71], v[68:69], s[30:31]
	v_mul_f64 v[72:73], v[10:11], s[8:9]
	v_fma_f64 v[74:75], v[114:115], s[46:47], -v[74:75]
	v_fma_f64 v[112:113], v[8:9], s[48:49], v[112:113]
	v_add_f64 v[116:117], v[50:51], v[48:49]
	v_add_f64 v[54:55], v[54:55], v[56:57]
	;; [unrolled: 1-line block ×4, first 2 shown]
	v_fma_f64 v[48:49], v[114:115], s[8:9], v[70:71]
	v_mul_f64 v[68:69], v[68:69], s[28:29]
	v_add_f64 v[30:31], v[74:75], v[30:31]
	v_add_f64 v[64:65], v[112:113], v[34:35]
	v_fma_f64 v[34:35], v[114:115], s[8:9], -v[70:71]
	v_fma_f64 v[70:71], v[8:9], s[30:31], v[72:73]
	v_mul_f64 v[10:11], v[10:11], s[34:35]
	v_add_f64 v[74:75], v[2:3], -v[6:7]
	v_add_f64 v[76:77], v[2:3], v[6:7]
	v_fma_f64 v[50:51], v[8:9], s[16:17], v[72:73]
	v_fma_f64 v[2:3], v[114:115], s[34:35], v[68:69]
	v_add_f64 v[112:113], v[0:1], v[4:5]
	v_add_f64 v[78:79], v[34:35], v[14:15]
	;; [unrolled: 1-line block ×3, first 2 shown]
	v_fma_f64 v[6:7], v[8:9], s[36:37], v[10:11]
	v_add_f64 v[118:119], v[0:1], -v[4:5]
	v_mul_f64 v[0:1], v[74:75], s[44:45]
	v_mul_f64 v[4:5], v[76:77], s[46:47]
	v_fma_f64 v[14:15], v[114:115], s[34:35], -v[68:69]
	v_fma_f64 v[8:9], v[8:9], s[28:29], v[10:11]
	v_mul_f64 v[10:11], v[74:75], s[30:31]
	v_mul_f64 v[26:27], v[76:77], s[8:9]
	v_add_f64 v[72:73], v[48:49], v[38:39]
	v_add_f64 v[68:69], v[2:3], v[32:33]
	;; [unrolled: 1-line block ×3, first 2 shown]
	v_fma_f64 v[2:3], v[112:113], s[46:47], v[0:1]
	v_fma_f64 v[6:7], v[118:119], s[48:49], v[4:5]
	v_add_f64 v[114:115], v[14:15], v[16:17]
	v_add_f64 v[120:121], v[8:9], v[18:19]
	v_fma_f64 v[8:9], v[112:113], s[46:47], -v[0:1]
	v_fma_f64 v[4:5], v[118:119], s[44:45], v[4:5]
	v_fma_f64 v[14:15], v[112:113], s[8:9], v[10:11]
	;; [unrolled: 1-line block ×3, first 2 shown]
	v_mul_f64 v[18:19], v[74:75], s[38:39]
	v_mul_f64 v[38:39], v[76:77], s[40:41]
	v_add_f64 v[0:1], v[2:3], v[52:53]
	v_add_f64 v[2:3], v[6:7], v[58:59]
	;; [unrolled: 1-line block ×6, first 2 shown]
	v_fma_f64 v[8:9], v[112:113], s[8:9], -v[10:11]
	v_fma_f64 v[10:11], v[118:119], s[30:31], v[26:27]
	v_fma_f64 v[12:13], v[112:113], s[40:41], v[18:19]
	v_fma_f64 v[14:15], v[118:119], s[42:43], v[38:39]
	v_mul_f64 v[16:17], v[74:75], s[26:27]
	v_mul_f64 v[20:21], v[76:77], s[24:25]
	v_fma_f64 v[18:19], v[112:113], s[40:41], -v[18:19]
	v_fma_f64 v[22:23], v[118:119], s[38:39], v[38:39]
	v_add_f64 v[60:61], v[50:51], v[60:61]
	v_add_f64 v[48:49], v[8:9], v[24:25]
	;; [unrolled: 1-line block ×5, first 2 shown]
	v_fma_f64 v[12:13], v[112:113], s[24:25], v[16:17]
	v_fma_f64 v[14:15], v[118:119], s[22:23], v[20:21]
	v_add_f64 v[36:37], v[18:19], v[116:117]
	v_add_f64 v[38:39], v[22:23], v[54:55]
	v_fma_f64 v[16:17], v[112:113], s[24:25], -v[16:17]
	v_fma_f64 v[18:19], v[118:119], s[26:27], v[20:21]
	v_mul_f64 v[20:21], v[74:75], s[28:29]
	v_mul_f64 v[22:23], v[76:77], s[34:35]
	;; [unrolled: 1-line block ×4, first 2 shown]
	v_add_f64 v[12:13], v[12:13], v[56:57]
	v_add_f64 v[14:15], v[14:15], v[62:63]
	;; [unrolled: 1-line block ×4, first 2 shown]
	v_fma_f64 v[16:17], v[112:113], s[34:35], v[20:21]
	v_fma_f64 v[18:19], v[118:119], s[36:37], v[22:23]
	;; [unrolled: 1-line block ×4, first 2 shown]
	v_fma_f64 v[54:55], v[112:113], s[18:19], -v[28:29]
	v_fma_f64 v[56:57], v[118:119], s[20:21], v[40:41]
	v_fma_f64 v[20:21], v[112:113], s[34:35], -v[20:21]
	v_fma_f64 v[22:23], v[118:119], s[28:29], v[22:23]
	v_add_f64 v[16:17], v[16:17], v[72:73]
	v_add_f64 v[18:19], v[18:19], v[60:61]
	;; [unrolled: 1-line block ×8, first 2 shown]
	ds_write_b128 v236, v[44:47]
	ds_write_b128 v236, v[0:3] offset:272
	ds_write_b128 v236, v[4:7] offset:544
	;; [unrolled: 1-line block ×12, first 2 shown]
	s_waitcnt lgkmcnt(0)
	s_barrier
	ds_read_b128 v[44:47], v255
	ds_read_b128 v[116:119], v255 offset:3536
	ds_read_b128 v[76:79], v255 offset:7072
	;; [unrolled: 1-line block ×8, first 2 shown]
	s_and_saveexec_b64 s[8:9], s[2:3]
	s_cbranch_execz .LBB0_19
; %bb.18:
	ds_read_b128 v[24:27], v255 offset:2448
	ds_read_b128 v[36:39], v255 offset:5984
	ds_read_b128 v[48:51], v255 offset:9520
	ds_read_b128 v[32:35], v255 offset:13056
	ds_read_b128 v[196:199], v255 offset:16592
	ds_read_b128 v[188:191], v255 offset:20128
	ds_read_b128 v[180:183], v255 offset:23664
	ds_read_b128 v[192:195], v255 offset:27200
	ds_read_b128 v[0:3], v255 offset:30736
	s_waitcnt lgkmcnt(0)
	buffer_store_dword v0, off, s[64:67], 0 offset:12 ; 4-byte Folded Spill
	s_nop 0
	buffer_store_dword v1, off, s[64:67], 0 offset:16 ; 4-byte Folded Spill
	buffer_store_dword v2, off, s[64:67], 0 offset:20 ; 4-byte Folded Spill
	;; [unrolled: 1-line block ×3, first 2 shown]
.LBB0_19:
	s_or_b64 exec, exec, s[8:9]
	s_waitcnt lgkmcnt(7)
	v_mul_f64 v[2:3], v[94:95], v[116:117]
	s_waitcnt lgkmcnt(0)
	v_mul_f64 v[18:19], v[102:103], v[64:65]
	v_mul_f64 v[0:1], v[94:95], v[118:119]
	v_mul_f64 v[6:7], v[90:91], v[76:77]
	v_mul_f64 v[16:17], v[102:103], v[66:67]
	v_mul_f64 v[22:23], v[106:107], v[60:61]
	v_mul_f64 v[30:31], v[110:111], v[56:57]
	v_mul_f64 v[4:5], v[90:91], v[78:79]
	v_fma_f64 v[2:3], v[92:93], v[118:119], -v[2:3]
	v_fma_f64 v[18:19], v[100:101], v[66:67], -v[18:19]
	v_mul_f64 v[10:11], v[86:87], v[72:73]
	v_fma_f64 v[0:1], v[92:93], v[116:117], v[0:1]
	v_fma_f64 v[6:7], v[88:89], v[78:79], -v[6:7]
	v_mul_f64 v[20:21], v[106:107], v[62:63]
	v_mul_f64 v[28:29], v[110:111], v[58:59]
	v_fma_f64 v[16:17], v[100:101], v[64:65], v[16:17]
	v_mul_f64 v[42:43], v[98:99], v[52:53]
	v_fma_f64 v[22:23], v[104:105], v[62:63], -v[22:23]
	v_fma_f64 v[30:31], v[108:109], v[58:59], -v[30:31]
	v_add_f64 v[58:59], v[2:3], -v[18:19]
	s_mov_b32 s10, 0x523c161c
	s_mov_b32 s11, 0x3fe491b7
	v_mul_f64 v[8:9], v[86:87], v[74:75]
	v_mul_f64 v[12:13], v[82:83], v[70:71]
	;; [unrolled: 1-line block ×3, first 2 shown]
	v_fma_f64 v[4:5], v[88:89], v[76:77], v[4:5]
	v_fma_f64 v[10:11], v[84:85], v[74:75], -v[10:11]
	v_mul_f64 v[40:41], v[98:99], v[54:55]
	v_fma_f64 v[20:21], v[104:105], v[60:61], v[20:21]
	v_fma_f64 v[28:29], v[108:109], v[56:57], v[28:29]
	v_add_f64 v[56:57], v[0:1], -v[16:17]
	v_fma_f64 v[42:43], v[96:97], v[54:55], -v[42:43]
	v_add_f64 v[54:55], v[6:7], -v[22:23]
	v_mul_f64 v[62:63], v[58:59], s[10:11]
	v_add_f64 v[16:17], v[0:1], v[16:17]
	s_mov_b32 s16, 0x8c811c17
	s_mov_b32 s20, 0xa2cf5039
	;; [unrolled: 1-line block ×4, first 2 shown]
	v_fma_f64 v[8:9], v[84:85], v[72:73], v[8:9]
	v_fma_f64 v[12:13], v[80:81], v[68:69], v[12:13]
	v_fma_f64 v[14:15], v[80:81], v[70:71], -v[14:15]
	v_fma_f64 v[40:41], v[96:97], v[52:53], v[40:41]
	v_add_f64 v[52:53], v[4:5], -v[20:21]
	v_mul_f64 v[60:61], v[56:57], s[10:11]
	v_add_f64 v[18:19], v[2:3], v[18:19]
	v_add_f64 v[66:67], v[10:11], -v[42:43]
	v_fma_f64 v[2:3], v[54:55], s[16:17], v[62:63]
	v_add_f64 v[20:21], v[4:5], v[20:21]
	v_fma_f64 v[4:5], v[16:17], s[20:21], v[44:45]
	s_mov_b32 s8, 0xe8584cab
	s_mov_b32 s18, 0x7e0b738b
	;; [unrolled: 1-line block ×4, first 2 shown]
	v_add_f64 v[64:65], v[8:9], -v[40:41]
	v_fma_f64 v[0:1], v[52:53], s[16:17], v[60:61]
	v_add_f64 v[6:7], v[6:7], v[22:23]
	v_add_f64 v[22:23], v[8:9], v[40:41]
	;; [unrolled: 1-line block ×3, first 2 shown]
	v_fma_f64 v[2:3], v[66:67], s[8:9], v[2:3]
	v_fma_f64 v[8:9], v[18:19], s[20:21], v[46:47]
	v_add_f64 v[42:43], v[12:13], -v[28:29]
	v_add_f64 v[60:61], v[14:15], -v[30:31]
	v_add_f64 v[62:63], v[12:13], v[28:29]
	v_add_f64 v[68:69], v[14:15], v[30:31]
	v_fma_f64 v[4:5], v[20:21], s[18:19], v[4:5]
	s_mov_b32 s22, 0x748a0bf8
	s_mov_b32 s29, 0xbfe491b7
	;; [unrolled: 1-line block ×4, first 2 shown]
	v_fma_f64 v[8:9], v[6:7], s[18:19], v[8:9]
	v_mul_f64 v[10:11], v[42:43], s[28:29]
	v_mul_f64 v[70:71], v[60:61], s[28:29]
	v_fma_f64 v[72:73], v[62:63], s[20:21], v[44:45]
	v_fma_f64 v[74:75], v[68:69], s[20:21], v[46:47]
	;; [unrolled: 1-line block ×3, first 2 shown]
	v_fma_f64 v[2:3], v[22:23], -0.5, v[4:5]
	s_mov_b32 s26, 0x42522d1b
	s_mov_b32 s27, 0xbfee11f6
	v_fma_f64 v[0:1], v[64:65], s[8:9], v[0:1]
	v_fma_f64 v[4:5], v[40:41], -0.5, v[8:9]
	v_fma_f64 v[8:9], v[56:57], s[16:17], v[10:11]
	v_fma_f64 v[10:11], v[58:59], s[16:17], v[70:71]
	;; [unrolled: 1-line block ×5, first 2 shown]
	s_mov_b32 s25, 0xbfebb67a
	s_mov_b32 s24, s8
	v_fma_f64 v[74:75], v[42:43], s[22:23], v[0:1]
	v_fma_f64 v[8:9], v[64:65], s[24:25], v[8:9]
	;; [unrolled: 1-line block ×3, first 2 shown]
	v_fma_f64 v[70:71], v[22:23], -0.5, v[70:71]
	v_fma_f64 v[72:73], v[40:41], -0.5, v[72:73]
	v_fma_f64 v[4:5], v[68:69], s[26:27], v[4:5]
	v_add_f64 v[0:1], v[2:3], -v[76:77]
	v_fma_f64 v[82:83], v[6:7], s[20:21], v[46:47]
	v_add_f64 v[84:85], v[44:45], v[22:23]
	v_fma_f64 v[78:79], v[52:53], s[22:23], v[8:9]
	v_fma_f64 v[80:81], v[54:55], s[22:23], v[10:11]
	;; [unrolled: 1-line block ×4, first 2 shown]
	v_add_f64 v[70:71], v[42:43], v[56:57]
	v_add_f64 v[2:3], v[74:75], v[4:5]
	v_fma_f64 v[4:5], v[76:77], 2.0, v[0:1]
	v_add_f64 v[72:73], v[60:61], v[58:59]
	v_mul_f64 v[42:43], v[42:43], s[16:17]
	v_mul_f64 v[60:61], v[60:61], s[16:17]
	v_fma_f64 v[76:77], v[20:21], s[20:21], v[44:45]
	v_add_f64 v[20:21], v[20:21], v[16:17]
	v_add_f64 v[6:7], v[6:7], v[18:19]
	v_add_f64 v[70:71], v[70:71], -v[52:53]
	v_add_f64 v[8:9], v[8:9], -v[80:81]
	;; [unrolled: 1-line block ×3, first 2 shown]
	v_fma_f64 v[42:43], v[52:53], s[28:29], -v[42:43]
	v_fma_f64 v[52:53], v[54:55], s[28:29], -v[60:61]
	v_fma_f64 v[54:55], v[62:63], s[18:19], v[76:77]
	v_fma_f64 v[60:61], v[68:69], s[18:19], v[82:83]
	v_add_f64 v[82:83], v[22:23], v[20:21]
	v_add_f64 v[86:87], v[40:41], v[6:7]
	;; [unrolled: 1-line block ×4, first 2 shown]
	v_fma_f64 v[42:43], v[64:65], s[8:9], v[42:43]
	v_fma_f64 v[52:53], v[66:67], s[8:9], v[52:53]
	v_fma_f64 v[22:23], v[22:23], -0.5, v[54:55]
	v_fma_f64 v[40:41], v[40:41], -0.5, v[60:61]
	v_add_f64 v[6:7], v[68:69], v[6:7]
	v_add_f64 v[12:13], v[12:13], v[82:83]
	;; [unrolled: 1-line block ×3, first 2 shown]
	v_fma_f64 v[20:21], v[20:21], -0.5, v[84:85]
	v_fma_f64 v[42:43], v[56:57], s[22:23], v[42:43]
	v_fma_f64 v[52:53], v[58:59], s[22:23], v[52:53]
	;; [unrolled: 1-line block ×4, first 2 shown]
	v_fma_f64 v[6:7], v[6:7], -0.5, v[76:77]
	v_add_f64 v[22:23], v[28:29], v[12:13]
	v_add_f64 v[28:29], v[30:31], v[14:15]
	v_mul_f64 v[30:31], v[70:71], s[8:9]
	v_mul_f64 v[40:41], v[72:73], s[8:9]
	v_fma_f64 v[12:13], v[72:73], s[24:25], v[20:21]
	v_add_f64 v[16:17], v[16:17], -v[52:53]
	v_add_f64 v[18:19], v[42:43], v[18:19]
	v_fma_f64 v[14:15], v[70:71], s[8:9], v[6:7]
	v_add_f64 v[10:11], v[78:79], v[10:11]
	v_add_f64 v[20:21], v[44:45], v[22:23]
	;; [unrolled: 1-line block ×3, first 2 shown]
	v_fma_f64 v[28:29], v[80:81], 2.0, v[8:9]
	v_fma_f64 v[40:41], v[40:41], 2.0, v[12:13]
	;; [unrolled: 1-line block ×3, first 2 shown]
	v_fma_f64 v[46:47], v[42:43], -2.0, v[18:19]
	v_fma_f64 v[42:43], v[30:31], -2.0, v[14:15]
	;; [unrolled: 1-line block ×4, first 2 shown]
	ds_write_b128 v255, v[20:23]
	ds_write_b128 v255, v[0:3] offset:3536
	ds_write_b128 v255, v[8:11] offset:7072
	;; [unrolled: 1-line block ×8, first 2 shown]
	s_mov_b64 s[30:31], exec
	buffer_load_dword v70, off, s[64:67], 0 offset:8 ; 4-byte Folded Reload
	s_and_b64 s[2:3], s[30:31], s[2:3]
	s_mov_b64 exec, s[2:3]
	s_cbranch_execz .LBB0_21
; %bb.20:
	buffer_load_dword v56, off, s[64:67], 0 offset:108 ; 4-byte Folded Reload
	buffer_load_dword v57, off, s[64:67], 0 offset:112 ; 4-byte Folded Reload
	;; [unrolled: 1-line block ×36, first 2 shown]
	s_waitcnt vmcnt(32)
	v_mul_f64 v[0:1], v[58:59], v[38:39]
	s_waitcnt vmcnt(24)
	v_mul_f64 v[2:3], v[62:63], v[77:78]
	;; [unrolled: 2-line block ×7, first 2 shown]
	v_mul_f64 v[16:17], v[30:31], v[50:51]
	v_mul_f64 v[18:19], v[73:74], v[194:195]
	;; [unrolled: 1-line block ×3, first 2 shown]
	v_fma_f64 v[0:1], v[56:57], v[36:37], v[0:1]
	v_fma_f64 v[6:7], v[40:41], v[196:197], v[6:7]
	;; [unrolled: 1-line block ×3, first 2 shown]
	v_fma_f64 v[10:11], v[71:72], v[194:195], -v[10:11]
	v_fma_f64 v[12:13], v[28:29], v[50:51], -v[12:13]
	v_mul_f64 v[20:21], v[46:47], v[188:189]
	v_fma_f64 v[16:17], v[28:29], v[48:49], v[16:17]
	v_fma_f64 v[18:19], v[71:72], v[192:193], v[18:19]
	v_fma_f64 v[22:23], v[40:41], v[198:199], -v[22:23]
	v_mul_f64 v[40:41], v[62:63], v[75:76]
	v_add_f64 v[28:29], v[6:7], -v[8:9]
	v_mul_f64 v[36:37], v[58:59], v[36:37]
	s_waitcnt vmcnt(0)
	v_mul_f64 v[14:15], v[66:67], v[182:183]
	v_fma_f64 v[4:5], v[52:53], v[32:33], v[4:5]
	v_add_f64 v[30:31], v[12:13], v[10:11]
	v_fma_f64 v[20:21], v[44:45], v[190:191], -v[20:21]
	v_mul_f64 v[42:43], v[66:67], v[180:181]
	v_mul_f64 v[32:33], v[54:55], v[32:33]
	v_add_f64 v[44:45], v[16:17], -v[18:19]
	v_mul_f64 v[46:47], v[28:29], s[16:17]
	v_fma_f64 v[40:41], v[60:61], v[77:78], -v[40:41]
	v_fma_f64 v[36:37], v[56:57], v[38:39], -v[36:37]
	v_fma_f64 v[14:15], v[64:65], v[180:181], v[14:15]
	v_fma_f64 v[48:49], v[30:31], s[20:21], v[26:27]
	v_add_f64 v[50:51], v[22:23], v[20:21]
	v_fma_f64 v[38:39], v[64:65], v[182:183], -v[42:43]
	v_fma_f64 v[32:33], v[52:53], v[34:35], -v[32:33]
	v_fma_f64 v[2:3], v[60:61], v[75:76], v[2:3]
	v_add_f64 v[34:35], v[22:23], -v[20:21]
	v_add_f64 v[16:17], v[16:17], v[18:19]
	v_fma_f64 v[42:43], v[44:45], s[28:29], -v[46:47]
	v_add_f64 v[46:47], v[36:37], v[40:41]
	v_add_f64 v[18:19], v[4:5], -v[14:15]
	v_fma_f64 v[48:49], v[50:51], s[18:19], v[48:49]
	v_add_f64 v[52:53], v[32:33], v[38:39]
	v_add_f64 v[12:13], v[12:13], -v[10:11]
	v_mul_f64 v[10:11], v[34:35], s[16:17]
	v_fma_f64 v[54:55], v[16:17], s[20:21], v[24:25]
	v_add_f64 v[56:57], v[6:7], v[8:9]
	v_add_f64 v[60:61], v[30:31], v[46:47]
	;; [unrolled: 1-line block ×3, first 2 shown]
	v_add_f64 v[58:59], v[0:1], -v[2:3]
	v_fma_f64 v[0:1], v[18:19], s[8:9], v[42:43]
	v_fma_f64 v[2:3], v[52:53], -0.5, v[48:49]
	v_add_f64 v[32:33], v[32:33], -v[38:39]
	v_fma_f64 v[10:11], v[12:13], s[28:29], -v[10:11]
	v_fma_f64 v[38:39], v[56:57], s[18:19], v[54:55]
	v_add_f64 v[4:5], v[4:5], v[14:15]
	v_add_f64 v[14:15], v[52:53], v[60:61]
	;; [unrolled: 1-line block ×3, first 2 shown]
	v_fma_f64 v[0:1], v[58:59], s[22:23], v[0:1]
	v_fma_f64 v[2:3], v[46:47], s[26:27], v[2:3]
	v_add_f64 v[36:37], v[36:37], -v[40:41]
	v_fma_f64 v[10:11], v[32:33], s[8:9], v[10:11]
	v_add_f64 v[48:49], v[50:51], v[60:61]
	v_fma_f64 v[38:39], v[4:5], -0.5, v[38:39]
	v_add_f64 v[14:15], v[22:23], v[14:15]
	v_add_f64 v[22:23], v[4:5], v[42:43]
	;; [unrolled: 1-line block ×5, first 2 shown]
	v_fma_f64 v[40:41], v[36:37], s[22:23], v[10:11]
	v_add_f64 v[60:61], v[34:35], v[36:37]
	v_fma_f64 v[10:11], v[62:63], s[26:27], v[38:39]
	v_add_f64 v[14:15], v[20:21], v[14:15]
	v_add_f64 v[20:21], v[6:7], v[22:23]
	;; [unrolled: 1-line block ×4, first 2 shown]
	v_fma_f64 v[6:7], v[0:1], -2.0, v[2:3]
	v_mul_f64 v[64:65], v[58:59], s[10:11]
	v_fma_f64 v[66:67], v[62:63], s[20:21], v[24:25]
	v_add_f64 v[0:1], v[10:11], -v[40:41]
	v_add_f64 v[10:11], v[26:27], v[14:15]
	v_add_f64 v[8:9], v[8:9], v[20:21]
	v_add_f64 v[14:15], v[22:23], -v[44:45]
	v_fma_f64 v[20:21], v[48:49], -0.5, v[38:39]
	v_fma_f64 v[22:23], v[42:43], -0.5, v[54:55]
	v_add_f64 v[38:39], v[60:61], -v[12:13]
	v_mul_f64 v[42:43], v[28:29], s[28:29]
	v_fma_f64 v[48:49], v[50:51], s[20:21], v[26:27]
	v_fma_f64 v[54:55], v[56:57], s[20:21], v[24:25]
	v_mul_f64 v[60:61], v[34:35], s[28:29]
	v_fma_f64 v[26:27], v[46:47], s[20:21], v[26:27]
	v_mul_f64 v[68:69], v[36:37], s[10:11]
	v_add_f64 v[8:9], v[24:25], v[8:9]
	v_fma_f64 v[42:43], v[58:59], s[16:17], v[42:43]
	v_fma_f64 v[46:47], v[46:47], s[18:19], v[48:49]
	;; [unrolled: 1-line block ×9, first 2 shown]
	v_fma_f64 v[46:47], v[52:53], -0.5, v[46:47]
	v_fma_f64 v[48:49], v[4:5], -0.5, v[48:49]
	v_fma_f64 v[36:37], v[32:33], s[24:25], v[36:37]
	v_fma_f64 v[18:19], v[18:19], s[8:9], v[54:55]
	v_fma_f64 v[26:27], v[52:53], -0.5, v[26:27]
	v_fma_f64 v[4:5], v[4:5], -0.5, v[58:59]
	v_fma_f64 v[32:33], v[32:33], s[8:9], v[60:61]
	v_fma_f64 v[42:43], v[44:45], s[22:23], v[42:43]
	;; [unrolled: 1-line block ×9, first 2 shown]
	v_mul_f64 v[28:29], v[14:15], s[8:9]
	v_fma_f64 v[14:15], v[14:15], s[8:9], v[20:21]
	v_mul_f64 v[34:35], v[38:39], s[8:9]
	v_fma_f64 v[12:13], v[38:39], s[24:25], v[22:23]
	v_add_f64 v[18:19], v[42:43], v[30:31]
	v_add_f64 v[16:17], v[16:17], -v[36:37]
	v_add_f64 v[22:23], v[44:45], v[26:27]
	v_add_f64 v[20:21], v[4:5], -v[32:33]
	v_fma_f64 v[4:5], v[40:41], 2.0, v[0:1]
	v_fma_f64 v[26:27], v[28:29], -2.0, v[14:15]
	v_fma_f64 v[24:25], v[34:35], 2.0, v[12:13]
	v_fma_f64 v[30:31], v[42:43], -2.0, v[18:19]
	;; [unrolled: 2-line block ×3, first 2 shown]
	v_fma_f64 v[32:33], v[32:33], 2.0, v[20:21]
	ds_write_b128 v255, v[8:11] offset:2448
	ds_write_b128 v255, v[20:23] offset:5984
	;; [unrolled: 1-line block ×9, first 2 shown]
.LBB0_21:
	s_or_b64 exec, exec, s[30:31]
	s_waitcnt vmcnt(0) lgkmcnt(0)
	s_barrier
	s_and_b64 exec, exec, s[0:1]
	s_cbranch_execz .LBB0_23
; %bb.22:
	global_load_dwordx4 v[0:3], v255, s[12:13]
	buffer_load_dword v22, off, s[64:67], 0 ; 4-byte Folded Reload
	buffer_load_dword v23, off, s[64:67], 0 offset:4 ; 4-byte Folded Reload
	ds_read_b128 v[4:7], v255
	v_mad_u64_u32 v[14:15], s[0:1], s4, v70, 0
	ds_read_b128 v[8:11], v255 offset:1872
	ds_read_b128 v[16:19], v255 offset:29952
	s_mul_i32 s3, s5, 0x750
	s_mul_i32 s2, s4, 0x750
	s_waitcnt vmcnt(2) lgkmcnt(2)
	v_mul_f64 v[20:21], v[6:7], v[2:3]
	v_mul_f64 v[2:3], v[4:5], v[2:3]
	s_waitcnt vmcnt(1)
	v_mad_u64_u32 v[12:13], s[0:1], s6, v22, 0
	s_waitcnt vmcnt(0)
	v_mad_u64_u32 v[22:23], s[0:1], s7, v22, v[13:14]
	v_fma_f64 v[4:5], v[4:5], v[0:1], v[20:21]
	v_fma_f64 v[2:3], v[0:1], v[6:7], -v[2:3]
	s_waitcnt lgkmcnt(0)
	v_mad_u64_u32 v[23:24], s[0:1], s5, v70, v[15:16]
	s_mov_b32 s0, 0x10798010
	s_mov_b32 s1, 0x3f407980
	v_mov_b32_e32 v13, v22
	v_lshlrev_b64 v[6:7], 4, v[12:13]
	v_mul_f64 v[0:1], v[4:5], s[0:1]
	v_mul_f64 v[2:3], v[2:3], s[0:1]
	v_mov_b32_e32 v15, v23
	v_mov_b32_e32 v20, s15
	v_lshlrev_b64 v[12:13], 4, v[14:15]
	v_add_co_u32_e32 v4, vcc, s14, v6
	v_addc_co_u32_e32 v5, vcc, v20, v7, vcc
	v_add_co_u32_e32 v4, vcc, v4, v12
	v_addc_co_u32_e32 v5, vcc, v5, v13, vcc
	global_store_dwordx4 v[4:5], v[0:3], off
	global_load_dwordx4 v[0:3], v255, s[12:13] offset:1872
	s_mul_hi_u32 s5, s4, 0x750
	s_add_i32 s3, s5, s3
	v_add_co_u32_e32 v12, vcc, s2, v4
	v_mov_b32_e32 v20, s13
	s_movk_i32 s4, 0x1000
	s_waitcnt vmcnt(0)
	v_mul_f64 v[6:7], v[10:11], v[2:3]
	v_mul_f64 v[2:3], v[8:9], v[2:3]
	v_fma_f64 v[6:7], v[8:9], v[0:1], v[6:7]
	v_fma_f64 v[2:3], v[0:1], v[10:11], -v[2:3]
	v_mul_f64 v[0:1], v[6:7], s[0:1]
	v_mul_f64 v[2:3], v[2:3], s[0:1]
	v_mov_b32_e32 v6, s3
	v_addc_co_u32_e32 v13, vcc, v5, v6, vcc
	v_add_co_u32_e32 v22, vcc, s12, v255
	v_addc_co_u32_e32 v23, vcc, 0, v20, vcc
	global_store_dwordx4 v[12:13], v[0:3], off
	global_load_dwordx4 v[0:3], v255, s[12:13] offset:3744
	ds_read_b128 v[4:7], v255 offset:3744
	ds_read_b128 v[8:11], v255 offset:5616
	s_waitcnt vmcnt(0) lgkmcnt(1)
	v_mul_f64 v[14:15], v[6:7], v[2:3]
	v_mul_f64 v[2:3], v[4:5], v[2:3]
	v_fma_f64 v[4:5], v[4:5], v[0:1], v[14:15]
	v_fma_f64 v[2:3], v[0:1], v[6:7], -v[2:3]
	v_mov_b32_e32 v7, s3
	v_mul_f64 v[0:1], v[4:5], s[0:1]
	v_mul_f64 v[2:3], v[2:3], s[0:1]
	v_add_co_u32_e32 v4, vcc, s4, v22
	v_addc_co_u32_e32 v5, vcc, 0, v23, vcc
	v_add_co_u32_e32 v6, vcc, s2, v12
	v_addc_co_u32_e32 v7, vcc, v13, v7, vcc
	global_store_dwordx4 v[6:7], v[0:3], off
	global_load_dwordx4 v[0:3], v[4:5], off offset:1520
	s_movk_i32 s4, 0x2000
	s_waitcnt vmcnt(0) lgkmcnt(0)
	v_mul_f64 v[12:13], v[10:11], v[2:3]
	v_mul_f64 v[2:3], v[8:9], v[2:3]
	v_fma_f64 v[8:9], v[8:9], v[0:1], v[12:13]
	v_fma_f64 v[2:3], v[0:1], v[10:11], -v[2:3]
	v_add_co_u32_e32 v12, vcc, s2, v6
	v_mul_f64 v[0:1], v[8:9], s[0:1]
	v_mul_f64 v[2:3], v[2:3], s[0:1]
	v_mov_b32_e32 v8, s3
	v_addc_co_u32_e32 v13, vcc, v7, v8, vcc
	global_store_dwordx4 v[12:13], v[0:3], off
	global_load_dwordx4 v[0:3], v[4:5], off offset:3392
	ds_read_b128 v[4:7], v255 offset:7488
	ds_read_b128 v[8:11], v255 offset:9360
	s_waitcnt vmcnt(0) lgkmcnt(1)
	v_mul_f64 v[14:15], v[6:7], v[2:3]
	v_mul_f64 v[2:3], v[4:5], v[2:3]
	v_fma_f64 v[4:5], v[4:5], v[0:1], v[14:15]
	v_fma_f64 v[2:3], v[0:1], v[6:7], -v[2:3]
	v_mov_b32_e32 v7, s3
	v_mul_f64 v[0:1], v[4:5], s[0:1]
	v_mul_f64 v[2:3], v[2:3], s[0:1]
	v_add_co_u32_e32 v4, vcc, s4, v22
	v_addc_co_u32_e32 v5, vcc, 0, v23, vcc
	v_add_co_u32_e32 v6, vcc, s2, v12
	v_addc_co_u32_e32 v7, vcc, v13, v7, vcc
	global_store_dwordx4 v[6:7], v[0:3], off
	global_load_dwordx4 v[0:3], v[4:5], off offset:1168
	s_movk_i32 s4, 0x3000
	s_waitcnt vmcnt(0) lgkmcnt(0)
	v_mul_f64 v[12:13], v[10:11], v[2:3]
	v_mul_f64 v[2:3], v[8:9], v[2:3]
	v_fma_f64 v[8:9], v[8:9], v[0:1], v[12:13]
	v_fma_f64 v[2:3], v[0:1], v[10:11], -v[2:3]
	v_add_co_u32_e32 v12, vcc, s2, v6
	v_mul_f64 v[0:1], v[8:9], s[0:1]
	v_mul_f64 v[2:3], v[2:3], s[0:1]
	v_mov_b32_e32 v8, s3
	v_addc_co_u32_e32 v13, vcc, v7, v8, vcc
	global_store_dwordx4 v[12:13], v[0:3], off
	global_load_dwordx4 v[0:3], v[4:5], off offset:3040
	;; [unrolled: 29-line block ×4, first 2 shown]
	ds_read_b128 v[4:7], v255 offset:18720
	ds_read_b128 v[8:11], v255 offset:20592
	s_waitcnt vmcnt(0) lgkmcnt(1)
	v_mul_f64 v[14:15], v[6:7], v[2:3]
	v_mul_f64 v[2:3], v[4:5], v[2:3]
	v_fma_f64 v[4:5], v[4:5], v[0:1], v[14:15]
	v_fma_f64 v[2:3], v[0:1], v[6:7], -v[2:3]
	v_add_co_u32_e32 v14, vcc, s4, v22
	v_addc_co_u32_e32 v15, vcc, 0, v23, vcc
	v_mov_b32_e32 v6, s3
	s_movk_i32 s4, 0x6000
	v_mul_f64 v[0:1], v[4:5], s[0:1]
	v_mul_f64 v[2:3], v[2:3], s[0:1]
	v_add_co_u32_e32 v4, vcc, s2, v12
	v_addc_co_u32_e32 v5, vcc, v13, v6, vcc
	v_add_co_u32_e32 v12, vcc, s2, v4
	global_store_dwordx4 v[4:5], v[0:3], off
	global_load_dwordx4 v[0:3], v[14:15], off offset:112
	s_waitcnt vmcnt(0) lgkmcnt(0)
	v_mul_f64 v[6:7], v[10:11], v[2:3]
	v_mul_f64 v[2:3], v[8:9], v[2:3]
	v_fma_f64 v[6:7], v[8:9], v[0:1], v[6:7]
	v_fma_f64 v[2:3], v[0:1], v[10:11], -v[2:3]
	v_mul_f64 v[0:1], v[6:7], s[0:1]
	v_mul_f64 v[2:3], v[2:3], s[0:1]
	v_mov_b32_e32 v6, s3
	v_addc_co_u32_e32 v13, vcc, v5, v6, vcc
	global_store_dwordx4 v[12:13], v[0:3], off
	global_load_dwordx4 v[0:3], v[14:15], off offset:1984
	ds_read_b128 v[4:7], v255 offset:22464
	ds_read_b128 v[8:11], v255 offset:24336
	s_waitcnt vmcnt(0) lgkmcnt(1)
	v_mul_f64 v[20:21], v[6:7], v[2:3]
	v_mul_f64 v[2:3], v[4:5], v[2:3]
	v_fma_f64 v[4:5], v[4:5], v[0:1], v[20:21]
	v_fma_f64 v[2:3], v[0:1], v[6:7], -v[2:3]
	v_mul_f64 v[0:1], v[4:5], s[0:1]
	v_mul_f64 v[2:3], v[2:3], s[0:1]
	v_mov_b32_e32 v5, s3
	v_add_co_u32_e32 v4, vcc, s2, v12
	v_addc_co_u32_e32 v5, vcc, v13, v5, vcc
	v_add_co_u32_e32 v12, vcc, s4, v22
	global_store_dwordx4 v[4:5], v[0:3], off
	global_load_dwordx4 v[0:3], v[14:15], off offset:3856
	v_addc_co_u32_e32 v13, vcc, 0, v23, vcc
	v_add_co_u32_e32 v14, vcc, s2, v4
	s_movk_i32 s4, 0x7000
	s_waitcnt vmcnt(0) lgkmcnt(0)
	v_mul_f64 v[6:7], v[10:11], v[2:3]
	v_mul_f64 v[2:3], v[8:9], v[2:3]
	v_fma_f64 v[6:7], v[8:9], v[0:1], v[6:7]
	v_fma_f64 v[2:3], v[0:1], v[10:11], -v[2:3]
	v_mov_b32_e32 v8, s3
	v_addc_co_u32_e32 v15, vcc, v5, v8, vcc
	v_mul_f64 v[0:1], v[6:7], s[0:1]
	v_mul_f64 v[2:3], v[2:3], s[0:1]
	global_store_dwordx4 v[14:15], v[0:3], off
	global_load_dwordx4 v[0:3], v[12:13], off offset:1632
	ds_read_b128 v[4:7], v255 offset:26208
	ds_read_b128 v[8:11], v255 offset:28080
	s_waitcnt vmcnt(0) lgkmcnt(1)
	v_mul_f64 v[20:21], v[6:7], v[2:3]
	v_mul_f64 v[2:3], v[4:5], v[2:3]
	v_fma_f64 v[4:5], v[4:5], v[0:1], v[20:21]
	v_fma_f64 v[2:3], v[0:1], v[6:7], -v[2:3]
	v_mul_f64 v[0:1], v[4:5], s[0:1]
	v_mul_f64 v[2:3], v[2:3], s[0:1]
	v_mov_b32_e32 v5, s3
	v_add_co_u32_e32 v4, vcc, s2, v14
	v_addc_co_u32_e32 v5, vcc, v15, v5, vcc
	global_store_dwordx4 v[4:5], v[0:3], off
	global_load_dwordx4 v[0:3], v[12:13], off offset:3504
	s_waitcnt vmcnt(0) lgkmcnt(0)
	v_mul_f64 v[6:7], v[10:11], v[2:3]
	v_mul_f64 v[2:3], v[8:9], v[2:3]
	v_fma_f64 v[6:7], v[8:9], v[0:1], v[6:7]
	v_fma_f64 v[2:3], v[0:1], v[10:11], -v[2:3]
	v_mov_b32_e32 v8, s3
	v_mul_f64 v[0:1], v[6:7], s[0:1]
	v_mul_f64 v[2:3], v[2:3], s[0:1]
	v_add_co_u32_e32 v6, vcc, s4, v22
	v_addc_co_u32_e32 v7, vcc, 0, v23, vcc
	v_add_co_u32_e32 v4, vcc, s2, v4
	v_addc_co_u32_e32 v5, vcc, v5, v8, vcc
	global_store_dwordx4 v[4:5], v[0:3], off
	global_load_dwordx4 v[0:3], v[6:7], off offset:1280
	v_add_co_u32_e32 v4, vcc, s2, v4
	s_waitcnt vmcnt(0)
	v_mul_f64 v[6:7], v[18:19], v[2:3]
	v_mul_f64 v[2:3], v[16:17], v[2:3]
	v_fma_f64 v[6:7], v[16:17], v[0:1], v[6:7]
	v_fma_f64 v[2:3], v[0:1], v[18:19], -v[2:3]
	v_mul_f64 v[0:1], v[6:7], s[0:1]
	v_mul_f64 v[2:3], v[2:3], s[0:1]
	v_mov_b32_e32 v6, s3
	v_addc_co_u32_e32 v5, vcc, v5, v6, vcc
	global_store_dwordx4 v[4:5], v[0:3], off
.LBB0_23:
	s_endpgm
	.section	.rodata,"a",@progbits
	.p2align	6, 0x0
	.amdhsa_kernel bluestein_single_fwd_len1989_dim1_dp_op_CI_CI
		.amdhsa_group_segment_fixed_size 31824
		.amdhsa_private_segment_fixed_size 800
		.amdhsa_kernarg_size 104
		.amdhsa_user_sgpr_count 6
		.amdhsa_user_sgpr_private_segment_buffer 1
		.amdhsa_user_sgpr_dispatch_ptr 0
		.amdhsa_user_sgpr_queue_ptr 0
		.amdhsa_user_sgpr_kernarg_segment_ptr 1
		.amdhsa_user_sgpr_dispatch_id 0
		.amdhsa_user_sgpr_flat_scratch_init 0
		.amdhsa_user_sgpr_private_segment_size 0
		.amdhsa_uses_dynamic_stack 0
		.amdhsa_system_sgpr_private_segment_wavefront_offset 1
		.amdhsa_system_sgpr_workgroup_id_x 1
		.amdhsa_system_sgpr_workgroup_id_y 0
		.amdhsa_system_sgpr_workgroup_id_z 0
		.amdhsa_system_sgpr_workgroup_info 0
		.amdhsa_system_vgpr_workitem_id 0
		.amdhsa_next_free_vgpr 256
		.amdhsa_next_free_sgpr 68
		.amdhsa_reserve_vcc 1
		.amdhsa_reserve_flat_scratch 0
		.amdhsa_float_round_mode_32 0
		.amdhsa_float_round_mode_16_64 0
		.amdhsa_float_denorm_mode_32 3
		.amdhsa_float_denorm_mode_16_64 3
		.amdhsa_dx10_clamp 1
		.amdhsa_ieee_mode 1
		.amdhsa_fp16_overflow 0
		.amdhsa_exception_fp_ieee_invalid_op 0
		.amdhsa_exception_fp_denorm_src 0
		.amdhsa_exception_fp_ieee_div_zero 0
		.amdhsa_exception_fp_ieee_overflow 0
		.amdhsa_exception_fp_ieee_underflow 0
		.amdhsa_exception_fp_ieee_inexact 0
		.amdhsa_exception_int_div_zero 0
	.end_amdhsa_kernel
	.text
.Lfunc_end0:
	.size	bluestein_single_fwd_len1989_dim1_dp_op_CI_CI, .Lfunc_end0-bluestein_single_fwd_len1989_dim1_dp_op_CI_CI
                                        ; -- End function
	.section	.AMDGPU.csdata,"",@progbits
; Kernel info:
; codeLenInByte = 37392
; NumSgprs: 72
; NumVgprs: 256
; ScratchSize: 800
; MemoryBound: 0
; FloatMode: 240
; IeeeMode: 1
; LDSByteSize: 31824 bytes/workgroup (compile time only)
; SGPRBlocks: 8
; VGPRBlocks: 63
; NumSGPRsForWavesPerEU: 72
; NumVGPRsForWavesPerEU: 256
; Occupancy: 1
; WaveLimiterHint : 1
; COMPUTE_PGM_RSRC2:SCRATCH_EN: 1
; COMPUTE_PGM_RSRC2:USER_SGPR: 6
; COMPUTE_PGM_RSRC2:TRAP_HANDLER: 0
; COMPUTE_PGM_RSRC2:TGID_X_EN: 1
; COMPUTE_PGM_RSRC2:TGID_Y_EN: 0
; COMPUTE_PGM_RSRC2:TGID_Z_EN: 0
; COMPUTE_PGM_RSRC2:TIDIG_COMP_CNT: 0
	.type	__hip_cuid_1e6bc99ed90c44a0,@object ; @__hip_cuid_1e6bc99ed90c44a0
	.section	.bss,"aw",@nobits
	.globl	__hip_cuid_1e6bc99ed90c44a0
__hip_cuid_1e6bc99ed90c44a0:
	.byte	0                               ; 0x0
	.size	__hip_cuid_1e6bc99ed90c44a0, 1

	.ident	"AMD clang version 19.0.0git (https://github.com/RadeonOpenCompute/llvm-project roc-6.4.0 25133 c7fe45cf4b819c5991fe208aaa96edf142730f1d)"
	.section	".note.GNU-stack","",@progbits
	.addrsig
	.addrsig_sym __hip_cuid_1e6bc99ed90c44a0
	.amdgpu_metadata
---
amdhsa.kernels:
  - .args:
      - .actual_access:  read_only
        .address_space:  global
        .offset:         0
        .size:           8
        .value_kind:     global_buffer
      - .actual_access:  read_only
        .address_space:  global
        .offset:         8
        .size:           8
        .value_kind:     global_buffer
      - .actual_access:  read_only
        .address_space:  global
        .offset:         16
        .size:           8
        .value_kind:     global_buffer
      - .actual_access:  read_only
        .address_space:  global
        .offset:         24
        .size:           8
        .value_kind:     global_buffer
      - .actual_access:  read_only
        .address_space:  global
        .offset:         32
        .size:           8
        .value_kind:     global_buffer
      - .offset:         40
        .size:           8
        .value_kind:     by_value
      - .address_space:  global
        .offset:         48
        .size:           8
        .value_kind:     global_buffer
      - .address_space:  global
        .offset:         56
        .size:           8
        .value_kind:     global_buffer
      - .address_space:  global
        .offset:         64
        .size:           8
        .value_kind:     global_buffer
      - .address_space:  global
        .offset:         72
        .size:           8
        .value_kind:     global_buffer
      - .offset:         80
        .size:           4
        .value_kind:     by_value
      - .address_space:  global
        .offset:         88
        .size:           8
        .value_kind:     global_buffer
      - .address_space:  global
        .offset:         96
        .size:           8
        .value_kind:     global_buffer
    .group_segment_fixed_size: 31824
    .kernarg_segment_align: 8
    .kernarg_segment_size: 104
    .language:       OpenCL C
    .language_version:
      - 2
      - 0
    .max_flat_workgroup_size: 153
    .name:           bluestein_single_fwd_len1989_dim1_dp_op_CI_CI
    .private_segment_fixed_size: 800
    .sgpr_count:     72
    .sgpr_spill_count: 0
    .symbol:         bluestein_single_fwd_len1989_dim1_dp_op_CI_CI.kd
    .uniform_work_group_size: 1
    .uses_dynamic_stack: false
    .vgpr_count:     256
    .vgpr_spill_count: 271
    .wavefront_size: 64
amdhsa.target:   amdgcn-amd-amdhsa--gfx906
amdhsa.version:
  - 1
  - 2
...

	.end_amdgpu_metadata
